;; amdgpu-corpus repo=ROCm/rocFFT kind=compiled arch=gfx1030 opt=O3
	.text
	.amdgcn_target "amdgcn-amd-amdhsa--gfx1030"
	.amdhsa_code_object_version 6
	.protected	bluestein_single_fwd_len1224_dim1_sp_op_CI_CI ; -- Begin function bluestein_single_fwd_len1224_dim1_sp_op_CI_CI
	.globl	bluestein_single_fwd_len1224_dim1_sp_op_CI_CI
	.p2align	8
	.type	bluestein_single_fwd_len1224_dim1_sp_op_CI_CI,@function
bluestein_single_fwd_len1224_dim1_sp_op_CI_CI: ; @bluestein_single_fwd_len1224_dim1_sp_op_CI_CI
; %bb.0:
	s_load_dwordx4 s[0:3], s[4:5], 0x28
	v_mul_u32_u24_e32 v1, 0x283, v0
	v_mov_b32_e32 v73, 0
	v_lshrrev_b32_e32 v1, 16, v1
	v_lshl_add_u32 v72, s6, 1, v1
	s_waitcnt lgkmcnt(0)
	v_cmp_gt_u64_e32 vcc_lo, s[0:1], v[72:73]
	s_and_saveexec_b32 s0, vcc_lo
	s_cbranch_execz .LBB0_15
; %bb.1:
	v_mul_lo_u16 v2, 0x66, v1
	s_clause 0x1
	s_load_dwordx2 s[12:13], s[4:5], 0x0
	s_load_dwordx2 s[14:15], s[4:5], 0x38
	v_and_b32_e32 v1, 1, v1
	v_sub_nc_u16 v0, v0, v2
	v_cmp_eq_u32_e32 vcc_lo, 1, v1
	v_and_b32_e32 v107, 0xffff, v0
	v_cndmask_b32_e64 v48, 0, 0x4c8, vcc_lo
	v_cmp_gt_u16_e32 vcc_lo, 0x48, v0
	v_lshlrev_b32_e32 v106, 3, v107
	v_or_b32_e32 v105, 0x480, v107
	v_lshlrev_b32_e32 v108, 3, v48
	s_and_saveexec_b32 s1, vcc_lo
	s_cbranch_execz .LBB0_3
; %bb.2:
	s_load_dwordx2 s[6:7], s[4:5], 0x18
	s_waitcnt lgkmcnt(0)
	v_add_co_u32 v10, s0, s12, v106
	v_lshlrev_b32_e32 v18, 3, v105
	v_add_co_ci_u32_e64 v11, null, s13, 0, s0
	s_clause 0x1
	global_load_dwordx2 v[0:1], v106, s[12:13] offset:1152
	global_load_dwordx2 v[2:3], v106, s[12:13] offset:1728
	v_add_co_u32 v4, s0, 0x800, v10
	v_add_co_ci_u32_e64 v5, s0, 0, v11, s0
	v_add_co_u32 v6, s0, 0x1000, v10
	v_add_co_ci_u32_e64 v7, s0, 0, v11, s0
	;; [unrolled: 2-line block ×3, first 2 shown]
	s_load_dwordx4 s[8:11], s[6:7], 0x0
	s_clause 0x9
	global_load_dwordx2 v[14:15], v106, s[12:13] offset:576
	global_load_dwordx2 v[16:17], v106, s[12:13]
	global_load_dwordx2 v[18:19], v18, s[12:13]
	global_load_dwordx2 v[22:23], v[4:5], off offset:256
	global_load_dwordx2 v[24:25], v[4:5], off offset:832
	;; [unrolled: 1-line block ×7, first 2 shown]
	v_add_co_u32 v10, s0, 0x2000, v10
	v_add_co_ci_u32_e64 v11, s0, 0, v11, s0
	v_add_nc_u32_e32 v71, v108, v106
	v_lshl_add_u32 v75, v107, 3, v108
	v_add_nc_u32_e32 v76, 0x400, v71
	v_add_nc_u32_e32 v78, 0xc00, v71
	v_add_nc_u32_e32 v77, 0x800, v71
	v_add_nc_u32_e32 v79, 0x1000, v71
	v_add_nc_u32_e32 v80, 0x1800, v71
	s_waitcnt lgkmcnt(0)
	v_mad_u64_u32 v[12:13], null, s10, v72, 0
	v_mad_u64_u32 v[20:21], null, s8, v107, 0
	s_mul_i32 s0, s9, 0x240
	s_mul_hi_u32 s6, s8, 0x240
	s_mul_i32 s7, s8, 0x240
	s_add_i32 s6, s6, s0
	s_waitcnt vmcnt(6)
	v_mad_u64_u32 v[35:36], null, s9, v107, v[21:22]
	s_clause 0x2
	global_load_dwordx2 v[36:37], v[8:9], off offset:192
	global_load_dwordx2 v[38:39], v[8:9], off offset:768
	;; [unrolled: 1-line block ×3, first 2 shown]
	v_mad_u64_u32 v[32:33], null, s11, v72, v[13:14]
	v_mad_u64_u32 v[33:34], null, s8, v105, 0
	v_mov_b32_e32 v21, v35
	v_mov_b32_e32 v13, v32
	;; [unrolled: 1-line block ×3, first 2 shown]
	v_lshlrev_b64 v[20:21], 3, v[20:21]
	v_lshlrev_b64 v[12:13], 3, v[12:13]
	v_mad_u64_u32 v[34:35], null, s9, v105, v[32:33]
	v_add_co_u32 v35, s0, s2, v12
	v_add_co_ci_u32_e64 v42, s0, s3, v13, s0
	v_add_co_u32 v12, s0, v35, v20
	v_add_co_ci_u32_e64 v13, s0, v42, v21, s0
	v_lshlrev_b64 v[20:21], 3, v[33:34]
	v_add_co_u32 v32, s0, v12, s7
	v_add_co_ci_u32_e64 v33, s0, s6, v13, s0
	global_load_dwordx2 v[12:13], v[12:13], off
	v_add_co_u32 v20, s0, v35, v20
	v_add_co_ci_u32_e64 v21, s0, v42, v21, s0
	v_add_co_u32 v34, s0, v32, s7
	v_add_co_ci_u32_e64 v35, s0, s6, v33, s0
	global_load_dwordx2 v[20:21], v[20:21], off
	v_add_co_u32 v42, s0, v34, s7
	v_add_co_ci_u32_e64 v43, s0, s6, v35, s0
	v_add_co_u32 v44, s0, v42, s7
	v_add_co_ci_u32_e64 v45, s0, s6, v43, s0
	s_clause 0x2
	global_load_dwordx2 v[32:33], v[32:33], off
	global_load_dwordx2 v[34:35], v[34:35], off
	global_load_dwordx2 v[42:43], v[42:43], off
	v_add_co_u32 v46, s0, v44, s7
	v_add_co_ci_u32_e64 v47, s0, s6, v45, s0
	global_load_dwordx2 v[44:45], v[44:45], off
	v_add_co_u32 v49, s0, v46, s7
	v_add_co_ci_u32_e64 v50, s0, s6, v47, s0
	global_load_dwordx2 v[46:47], v[46:47], off
	;; [unrolled: 3-line block ×10, first 2 shown]
	v_add_co_u32 v67, s0, v65, s7
	v_add_co_ci_u32_e64 v68, s0, s6, v66, s0
	global_load_dwordx2 v[8:9], v[8:9], off offset:1920
	global_load_dwordx2 v[65:66], v[65:66], off
	global_load_dwordx2 v[10:11], v[10:11], off offset:448
	global_load_dwordx2 v[67:68], v[67:68], off
	s_waitcnt vmcnt(18)
	v_mul_f32_e32 v70, v12, v17
	v_mul_f32_e32 v69, v13, v17
	v_fma_f32 v70, v13, v16, -v70
	v_fmac_f32_e32 v69, v12, v16
	s_waitcnt vmcnt(17)
	v_mul_f32_e32 v17, v20, v19
	v_mul_f32_e32 v73, v21, v19
	ds_write_b64 v75, v[69:70]
	v_fma_f32 v74, v21, v18, -v17
	v_fmac_f32_e32 v73, v20, v18
	s_waitcnt vmcnt(16)
	v_mul_f32_e32 v13, v32, v15
	v_mul_f32_e32 v12, v33, v15
	s_waitcnt vmcnt(15)
	v_mul_f32_e32 v15, v35, v1
	v_fma_f32 v13, v33, v14, -v13
	v_fmac_f32_e32 v12, v32, v14
	v_mul_f32_e32 v14, v34, v1
	s_waitcnt vmcnt(14)
	v_mul_f32_e32 v1, v43, v3
	v_mul_f32_e32 v3, v42, v3
	s_waitcnt vmcnt(13)
	v_mul_f32_e32 v17, v45, v23
	v_mul_f32_e32 v18, v44, v23
	v_fmac_f32_e32 v15, v34, v0
	v_fma_f32 v16, v35, v0, -v14
	v_fmac_f32_e32 v1, v42, v2
	v_fma_f32 v2, v43, v2, -v3
	;; [unrolled: 2-line block ×3, first 2 shown]
	s_waitcnt vmcnt(12)
	v_mul_f32_e32 v3, v46, v25
	ds_write2_b64 v71, v[12:13], v[15:16] offset0:72 offset1:144
	v_mul_f32_e32 v0, v47, v25
	s_waitcnt vmcnt(11)
	v_mul_f32_e32 v12, v50, v27
	ds_write2_b64 v76, v[1:2], v[17:18] offset0:88 offset1:160
	v_fma_f32 v1, v47, v24, -v3
	v_mul_f32_e32 v3, v49, v27
	s_waitcnt vmcnt(10)
	v_mul_f32_e32 v2, v52, v5
	v_mul_f32_e32 v5, v51, v5
	s_waitcnt vmcnt(9)
	v_mul_f32_e32 v14, v54, v29
	v_mul_f32_e32 v15, v53, v29
	v_fma_f32 v13, v50, v26, -v3
	v_fmac_f32_e32 v2, v51, v4
	v_fma_f32 v3, v52, v4, -v5
	v_fmac_f32_e32 v14, v53, v28
	;; [unrolled: 2-line block ×3, first 2 shown]
	v_fmac_f32_e32 v12, v49, v26
	s_waitcnt vmcnt(7)
	v_mul_f32_e32 v4, v58, v7
	ds_write2_b64 v78, v[2:3], v[14:15] offset0:120 offset1:192
	v_mul_f32_e32 v3, v57, v7
	ds_write2_b64 v77, v[0:1], v[12:13] offset0:104 offset1:176
	v_mul_f32_e32 v0, v56, v31
	v_mul_f32_e32 v1, v55, v31
	v_fmac_f32_e32 v4, v57, v6
	s_waitcnt vmcnt(6)
	v_mul_f32_e32 v2, v60, v37
	v_fma_f32 v5, v58, v6, -v3
	v_mul_f32_e32 v3, v59, v37
	s_waitcnt vmcnt(5)
	v_mul_f32_e32 v6, v62, v39
	v_mul_f32_e32 v7, v61, v39
	v_fmac_f32_e32 v0, v55, v30
	v_fma_f32 v1, v56, v30, -v1
	v_fmac_f32_e32 v2, v59, v36
	s_waitcnt vmcnt(4)
	v_mul_f32_e32 v12, v64, v41
	v_mul_f32_e32 v13, v63, v41
	v_fma_f32 v3, v60, v36, -v3
	s_waitcnt vmcnt(2)
	v_mul_f32_e32 v14, v66, v9
	v_mul_f32_e32 v15, v65, v9
	s_waitcnt vmcnt(0)
	v_mul_f32_e32 v9, v68, v11
	v_mul_f32_e32 v11, v67, v11
	v_fmac_f32_e32 v6, v61, v38
	v_fma_f32 v7, v62, v38, -v7
	v_fmac_f32_e32 v12, v63, v40
	v_fma_f32 v13, v64, v40, -v13
	v_fmac_f32_e32 v14, v65, v8
	v_fma_f32 v15, v66, v8, -v15
	v_fmac_f32_e32 v9, v67, v10
	v_fma_f32 v10, v68, v10, -v11
	v_add_nc_u32_e32 v8, 0x2000, v71
	ds_write2_b64 v79, v[0:1], v[4:5] offset0:136 offset1:208
	ds_write2_b64 v80, v[2:3], v[6:7] offset0:24 offset1:96
	;; [unrolled: 1-line block ×4, first 2 shown]
.LBB0_3:
	s_or_b32 exec_lo, exec_lo, s1
	s_clause 0x1
	s_load_dwordx2 s[0:1], s[4:5], 0x20
	s_load_dwordx2 s[2:3], s[4:5], 0x8
	v_mov_b32_e32 v4, 0
	v_mov_b32_e32 v5, 0
	s_waitcnt lgkmcnt(0)
	s_barrier
	buffer_gl0_inv
                                        ; implicit-def: $vgpr18
                                        ; implicit-def: $vgpr12
                                        ; implicit-def: $vgpr8
                                        ; implicit-def: $vgpr36
                                        ; implicit-def: $vgpr26
                                        ; implicit-def: $vgpr30
                                        ; implicit-def: $vgpr34
                                        ; implicit-def: $vgpr22
	s_and_saveexec_b32 s4, vcc_lo
	s_cbranch_execz .LBB0_5
; %bb.4:
	v_lshl_add_u32 v0, v48, 3, v106
	ds_read2_b64 v[4:7], v0 offset1:72
	ds_read2_b64 v[20:23], v0 offset0:144 offset1:216
	v_add_nc_u32_e32 v1, 0x800, v0
	v_add_nc_u32_e32 v2, 0x1000, v0
	;; [unrolled: 1-line block ×5, first 2 shown]
	ds_read2_b64 v[32:35], v1 offset0:32 offset1:104
	ds_read2_b64 v[28:31], v1 offset0:176 offset1:248
	;; [unrolled: 1-line block ×6, first 2 shown]
	ds_read_b64 v[36:37], v0 offset:9216
.LBB0_5:
	s_or_b32 exec_lo, exec_lo, s4
	s_waitcnt lgkmcnt(0)
	v_sub_f32_e32 v44, v7, v37
	v_add_f32_e32 v49, v36, v6
	v_sub_f32_e32 v45, v6, v36
	v_sub_f32_e32 v46, v21, v11
	v_add_f32_e32 v50, v37, v7
	v_mul_f32_e32 v62, 0xbeb8f4ab, v44
	v_add_f32_e32 v51, v10, v20
	v_sub_f32_e32 v115, v20, v10
	v_mul_f32_e32 v64, 0xbeb8f4ab, v45
	v_mul_f32_e32 v59, 0xbf2c7751, v46
	v_fmamk_f32 v0, v49, 0x3f6eb680, v62
	v_sub_f32_e32 v47, v23, v9
	v_add_f32_e32 v52, v11, v21
	v_mul_f32_e32 v60, 0xbf2c7751, v115
	v_fma_f32 v1, 0x3f6eb680, v50, -v64
	v_fmamk_f32 v2, v51, 0x3f3d2fb0, v59
	v_add_f32_e32 v0, v0, v4
	v_add_f32_e32 v53, v8, v22
	v_mul_f32_e32 v63, 0xbf65296c, v47
	v_sub_f32_e32 v118, v22, v8
	v_fma_f32 v3, 0x3f3d2fb0, v52, -v60
	v_add_f32_e32 v1, v1, v5
	v_add_f32_e32 v0, v2, v0
	;; [unrolled: 1-line block ×3, first 2 shown]
	v_sub_f32_e32 v116, v33, v15
	v_fmamk_f32 v2, v53, 0x3ee437d1, v63
	v_mul_f32_e32 v69, 0xbf65296c, v118
	v_sub_f32_e32 v127, v32, v14
	v_add_f32_e32 v1, v3, v1
	v_add_f32_e32 v57, v14, v32
	v_mul_f32_e32 v68, 0xbf7ee86f, v116
	v_add_f32_e32 v0, v2, v0
	v_fma_f32 v2, 0x3ee437d1, v56, -v69
	v_add_f32_e32 v58, v15, v33
	v_mul_f32_e32 v70, 0xbf7ee86f, v127
	v_sub_f32_e32 v119, v35, v13
	v_fmamk_f32 v3, v57, 0x3dbcf732, v68
	v_add_f32_e32 v1, v2, v1
	v_add_f32_e32 v61, v12, v34
	v_fma_f32 v2, 0x3dbcf732, v58, -v70
	v_mul_f32_e32 v78, 0xbf763a35, v119
	v_sub_f32_e32 v132, v34, v12
	v_add_f32_e32 v0, v3, v0
	v_sub_f32_e32 v126, v29, v19
	v_add_f32_e32 v1, v2, v1
	v_add_f32_e32 v66, v13, v35
	v_fmamk_f32 v2, v61, 0xbe8c1d8e, v78
	v_mul_f32_e32 v80, 0xbf763a35, v132
	v_sub_f32_e32 v129, v28, v18
	v_add_f32_e32 v65, v18, v28
	v_mul_f32_e32 v79, 0xbf4c4adb, v126
	v_add_f32_e32 v0, v2, v0
	v_fma_f32 v2, 0xbe8c1d8e, v66, -v80
	v_add_f32_e32 v67, v19, v29
	v_mul_f32_e32 v81, 0xbf4c4adb, v129
	v_sub_f32_e32 v130, v31, v17
	v_sub_f32_e32 v133, v30, v16
	v_fmamk_f32 v3, v65, 0xbf1a4643, v79
	v_add_f32_e32 v1, v2, v1
	v_fma_f32 v2, 0xbf1a4643, v67, -v81
	v_add_f32_e32 v71, v16, v30
	v_mul_f32_e32 v84, 0xbf06c442, v130
	v_add_f32_e32 v77, v17, v31
	v_mul_f32_e32 v85, 0xbf06c442, v133
	v_add_f32_e32 v0, v3, v0
	v_add_f32_e32 v1, v2, v1
	v_fmamk_f32 v2, v71, 0xbf59a7d5, v84
	v_mul_f32_e32 v88, 0xbf2c7751, v44
	v_fma_f32 v3, 0xbf59a7d5, v77, -v85
	v_mul_f32_e32 v98, 0xbf2c7751, v45
	v_mul_f32_e32 v89, 0xbf7ee86f, v46
	v_add_f32_e32 v0, v2, v0
	v_fmamk_f32 v2, v49, 0x3f3d2fb0, v88
	v_add_f32_e32 v1, v3, v1
	v_fma_f32 v3, 0x3f3d2fb0, v50, -v98
	v_mul_f32_e32 v100, 0xbf7ee86f, v115
	v_fmamk_f32 v38, v51, 0x3dbcf732, v89
	v_add_f32_e32 v2, v2, v4
	v_mul_f32_e32 v90, 0xbf4c4adb, v47
	v_add_f32_e32 v3, v3, v5
	v_fma_f32 v39, 0x3dbcf732, v52, -v100
	v_mul_f32_e32 v94, 0xbf4c4adb, v118
	v_add_f32_e32 v2, v38, v2
	v_fmamk_f32 v38, v53, 0xbf1a4643, v90
	v_mul_f32_e32 v91, 0xbe3c28d5, v116
	v_add_f32_e32 v3, v39, v3
	v_fma_f32 v39, 0xbf1a4643, v56, -v94
	v_mul_f32_e32 v96, 0xbe3c28d5, v127
	v_sub_f32_e32 v141, v25, v27
	v_add_f32_e32 v2, v38, v2
	v_fmamk_f32 v38, v57, 0xbf7ba420, v91
	v_add_f32_e32 v3, v39, v3
	v_fma_f32 v39, 0xbf7ba420, v58, -v96
	v_mul_f32_e32 v93, 0x3f06c442, v119
	v_mul_f32_e32 v99, 0x3f06c442, v132
	v_sub_f32_e32 v142, v24, v26
	v_add_f32_e32 v82, v26, v24
	v_mul_f32_e32 v86, 0xbe3c28d5, v141
	v_add_f32_e32 v2, v38, v2
	v_add_f32_e32 v3, v39, v3
	v_fmamk_f32 v38, v61, 0xbf59a7d5, v93
	v_fma_f32 v39, 0xbf59a7d5, v66, -v99
	v_mul_f32_e32 v95, 0x3f763a35, v126
	v_mul_f32_e32 v101, 0x3f763a35, v129
	v_add_f32_e32 v83, v27, v25
	v_mul_f32_e32 v87, 0xbe3c28d5, v142
	v_fmamk_f32 v40, v82, 0xbf7ba420, v86
	v_add_f32_e32 v38, v38, v2
	v_add_f32_e32 v3, v39, v3
	v_fmamk_f32 v39, v65, 0xbe8c1d8e, v95
	v_fma_f32 v42, 0xbe8c1d8e, v67, -v101
	v_mul_f32_e32 v97, 0x3f65296c, v130
	v_mul_f32_e32 v102, 0x3f65296c, v133
	v_fma_f32 v41, 0xbf7ba420, v83, -v87
	v_add_f32_e32 v2, v40, v0
	v_add_f32_e32 v0, v39, v38
	;; [unrolled: 1-line block ×3, first 2 shown]
	v_fmamk_f32 v39, v71, 0x3ee437d1, v97
	v_fma_f32 v40, 0x3ee437d1, v77, -v102
	v_mul_f32_e32 v114, 0xbf65296c, v44
	v_mul_f32_e32 v120, 0xbf65296c, v45
	v_add_f32_e32 v3, v41, v1
	v_add_f32_e32 v0, v39, v0
	;; [unrolled: 1-line block ×3, first 2 shown]
	v_fmamk_f32 v38, v49, 0x3ee437d1, v114
	v_mul_f32_e32 v111, 0xbf4c4adb, v46
	v_fma_f32 v39, 0x3ee437d1, v50, -v120
	v_mul_f32_e32 v121, 0xbf4c4adb, v115
	v_mul_f32_e32 v104, 0x3e3c28d5, v47
	v_add_f32_e32 v38, v38, v4
	v_fmamk_f32 v40, v51, 0xbf1a4643, v111
	v_add_f32_e32 v39, v39, v5
	v_fma_f32 v41, 0xbf1a4643, v52, -v121
	v_mul_f32_e32 v122, 0x3e3c28d5, v118
	v_mul_f32_e32 v109, 0x3f763a35, v116
	v_add_f32_e32 v38, v40, v38
	v_fmamk_f32 v40, v53, 0xbf7ba420, v104
	v_add_f32_e32 v39, v41, v39
	;; [unrolled: 6-line block ×4, first 2 shown]
	v_fma_f32 v41, 0x3f3d2fb0, v66, -v124
	v_mul_f32_e32 v112, 0xbeb8f4ab, v126
	v_mul_f32_e32 v125, 0xbeb8f4ab, v129
	v_fmamk_f32 v42, v82, 0x3f6eb680, v92
	v_mul_f32_e32 v103, 0x3eb8f4ab, v142
	v_add_f32_e32 v38, v40, v38
	v_add_f32_e32 v39, v41, v39
	v_fmamk_f32 v40, v65, 0x3f6eb680, v112
	v_fma_f32 v41, 0x3f6eb680, v67, -v125
	v_mul_f32_e32 v113, 0xbf7ee86f, v130
	v_mul_f32_e32 v134, 0xbf7ee86f, v44
	v_add_f32_e32 v0, v42, v0
	v_fma_f32 v42, 0x3f6eb680, v83, -v103
	v_add_f32_e32 v38, v40, v38
	v_add_f32_e32 v39, v41, v39
	v_fmamk_f32 v40, v71, 0x3dbcf732, v113
	v_mul_f32_e32 v128, 0xbf7ee86f, v133
	v_fmamk_f32 v41, v49, 0x3dbcf732, v134
	v_mul_f32_e32 v135, 0xbe3c28d5, v46
	v_mul_f32_e32 v149, 0xbf7ee86f, v45
	v_add_f32_e32 v1, v42, v1
	v_add_f32_e32 v38, v40, v38
	v_fma_f32 v40, 0x3dbcf732, v77, -v128
	v_add_f32_e32 v41, v41, v4
	v_fmamk_f32 v42, v51, 0xbf7ba420, v135
	v_fma_f32 v43, 0x3dbcf732, v50, -v149
	v_mul_f32_e32 v150, 0xbe3c28d5, v115
	v_mul_f32_e32 v136, 0x3f763a35, v47
	v_add_f32_e32 v39, v40, v39
	v_add_f32_e32 v40, v42, v41
	;; [unrolled: 1-line block ×3, first 2 shown]
	v_fma_f32 v42, 0xbf7ba420, v52, -v150
	v_fmamk_f32 v43, v53, 0xbe8c1d8e, v136
	v_mul_f32_e32 v145, 0x3f763a35, v118
	v_mul_f32_e32 v137, 0x3eb8f4ab, v116
	;; [unrolled: 1-line block ×3, first 2 shown]
	v_add_f32_e32 v41, v42, v41
	v_add_f32_e32 v40, v43, v40
	v_fma_f32 v42, 0xbe8c1d8e, v56, -v145
	v_fmamk_f32 v43, v57, 0x3f6eb680, v137
	v_mul_f32_e32 v146, 0x3eb8f4ab, v127
	v_mul_f32_e32 v138, 0xbf65296c, v119
	v_fmamk_f32 v54, v82, 0xbf59a7d5, v117
	v_add_f32_e32 v41, v42, v41
	v_add_f32_e32 v40, v43, v40
	v_fma_f32 v42, 0x3f6eb680, v58, -v146
	v_fmamk_f32 v43, v61, 0x3ee437d1, v138
	v_mul_f32_e32 v147, 0xbf65296c, v132
	v_mul_f32_e32 v139, 0xbf06c442, v126
	v_add_f32_e32 v54, v54, v38
	v_add_f32_e32 v38, v42, v41
	;; [unrolled: 1-line block ×3, first 2 shown]
	v_fma_f32 v41, 0x3ee437d1, v66, -v147
	v_fmamk_f32 v42, v65, 0xbf59a7d5, v139
	v_mul_f32_e32 v148, 0xbf06c442, v129
	v_mul_f32_e32 v140, 0x3f4c4adb, v130
	;; [unrolled: 1-line block ×3, first 2 shown]
	v_add_f32_e32 v38, v41, v38
	v_add_f32_e32 v40, v42, v40
	v_fma_f32 v41, 0xbf59a7d5, v67, -v148
	v_fmamk_f32 v42, v71, 0xbf1a4643, v140
	v_mul_f32_e32 v160, 0xbf763a35, v45
	v_mul_f32_e32 v153, 0x3f06c442, v46
	;; [unrolled: 1-line block ×3, first 2 shown]
	v_add_f32_e32 v38, v41, v38
	v_add_f32_e32 v40, v42, v40
	v_fmamk_f32 v41, v49, 0xbe8c1d8e, v159
	v_fma_f32 v42, 0xbe8c1d8e, v50, -v160
	v_fmamk_f32 v55, v51, 0xbf59a7d5, v153
	v_fma_f32 v73, 0xbf59a7d5, v52, -v161
	v_mul_f32_e32 v154, 0x3f2c7751, v47
	v_add_f32_e32 v41, v41, v4
	v_add_f32_e32 v42, v42, v5
	v_mul_f32_e32 v163, 0x3f2c7751, v118
	v_mul_f32_e32 v155, 0xbf65296c, v116
	v_mul_f32_e32 v164, 0xbf65296c, v127
	v_add_f32_e32 v41, v55, v41
	v_add_f32_e32 v42, v73, v42
	v_fmamk_f32 v55, v53, 0x3f3d2fb0, v154
	v_fma_f32 v73, 0x3f3d2fb0, v56, -v163
	v_mul_f32_e32 v156, 0xbe3c28d5, v119
	v_mul_f32_e32 v165, 0xbe3c28d5, v132
	v_mul_f32_e32 v157, 0x3f7ee86f, v126
	v_add_f32_e32 v41, v55, v41
	v_add_f32_e32 v42, v73, v42
	v_fmamk_f32 v55, v57, 0x3ee437d1, v155
	v_fma_f32 v73, 0x3ee437d1, v58, -v164
	;; [unrolled: 7-line block ×3, first 2 shown]
	v_mul_f32_e32 v167, 0xbeb8f4ab, v133
	v_mul_f32_e32 v131, 0xbf06c442, v142
	v_fma_f32 v74, 0xbf1a4643, v77, -v151
	v_add_f32_e32 v41, v55, v41
	v_add_f32_e32 v42, v73, v42
	v_fmamk_f32 v55, v65, 0x3dbcf732, v157
	v_fma_f32 v73, 0x3dbcf732, v67, -v166
	v_mul_f32_e32 v143, 0x3f2c7751, v141
	v_mul_f32_e32 v144, 0x3f2c7751, v142
	;; [unrolled: 1-line block ×3, first 2 shown]
	v_add_f32_e32 v41, v55, v41
	v_add_f32_e32 v42, v73, v42
	v_fmamk_f32 v55, v71, 0x3f6eb680, v158
	v_fma_f32 v73, 0x3f6eb680, v77, -v167
	v_mul_f32_e32 v162, 0xbf4c4adb, v142
	v_fma_f32 v43, 0xbf59a7d5, v83, -v131
	v_add_f32_e32 v38, v74, v38
	v_fmamk_f32 v74, v82, 0x3f3d2fb0, v143
	v_fma_f32 v75, 0x3f3d2fb0, v83, -v144
	v_add_f32_e32 v41, v55, v41
	v_add_f32_e32 v42, v73, v42
	v_fmamk_f32 v76, v82, 0xbf1a4643, v152
	v_fma_f32 v168, 0xbf1a4643, v83, -v162
	v_add_f32_e32 v55, v43, v39
	v_add_f32_e32 v73, v74, v40
	;; [unrolled: 1-line block ×5, first 2 shown]
	s_barrier
	buffer_gl0_inv
	s_and_saveexec_b32 s4, vcc_lo
	s_cbranch_execz .LBB0_7
; %bb.6:
	v_mul_f32_e32 v42, 0xbf59a7d5, v50
	v_mul_f32_e32 v169, 0xbf06c442, v44
	;; [unrolled: 1-line block ×5, first 2 shown]
	v_fmamk_f32 v38, v45, 0x3f06c442, v42
	v_fmamk_f32 v39, v49, 0xbf59a7d5, v169
	;; [unrolled: 1-line block ×3, first 2 shown]
	v_mul_f32_e32 v173, 0xbf7ee86f, v47
	v_fmamk_f32 v41, v51, 0x3ee437d1, v172
	v_add_f32_e32 v38, v38, v5
	v_add_f32_e32 v39, v39, v4
	v_mul_f32_e32 v170, 0xbf1a4643, v58
	v_fmamk_f32 v174, v118, 0x3f7ee86f, v168
	v_mul_f32_e32 v175, 0x3f4c4adb, v116
	v_add_f32_e32 v38, v40, v38
	v_fmamk_f32 v40, v53, 0x3dbcf732, v173
	v_add_f32_e32 v39, v41, v39
	v_mul_f32_e32 v171, 0x3f6eb680, v66
	v_mul_f32_e32 v176, 0xbeb8f4ab, v119
	v_fmamk_f32 v41, v127, 0xbf4c4adb, v170
	v_add_f32_e32 v38, v174, v38
	v_fmamk_f32 v174, v57, 0xbf1a4643, v175
	v_add_f32_e32 v39, v40, v39
	v_mul_f32_e32 v177, 0xbf7ba420, v67
	v_fmamk_f32 v40, v132, 0x3eb8f4ab, v171
	v_add_f32_e32 v38, v41, v38
	v_fmamk_f32 v41, v61, 0x3f6eb680, v176
	v_add_f32_e32 v39, v174, v39
	v_fmamk_f32 v179, v129, 0x3e3c28d5, v177
	v_mul_f32_e32 v174, 0xbe3c28d5, v126
	v_add_f32_e32 v38, v40, v38
	v_mul_f32_e32 v178, 0x3f3d2fb0, v77
	v_add_f32_e32 v39, v41, v39
	v_mul_f32_e32 v41, 0xbf7ba420, v50
	v_mul_f32_e32 v183, 0x3f6eb680, v52
	v_add_f32_e32 v38, v179, v38
	v_fmamk_f32 v40, v65, 0xbf7ba420, v174
	v_mul_f32_e32 v180, 0x3f2c7751, v130
	v_fmamk_f32 v179, v45, 0x3e3c28d5, v41
	v_mul_f32_e32 v181, 0xbe8c1d8e, v83
	v_fmamk_f32 v182, v133, 0xbf2c7751, v178
	v_fmamk_f32 v185, v115, 0xbeb8f4ab, v183
	v_mul_f32_e32 v186, 0xbf59a7d5, v56
	v_add_f32_e32 v179, v179, v5
	v_add_f32_e32 v39, v40, v39
	v_fmamk_f32 v40, v71, 0x3f3d2fb0, v180
	v_add_f32_e32 v38, v182, v38
	v_fmamk_f32 v182, v142, 0x3f763a35, v181
	v_mul_f32_e32 v188, 0xbe3c28d5, v44
	v_add_f32_e32 v179, v185, v179
	v_fmamk_f32 v185, v118, 0x3f06c442, v186
	v_mul_f32_e32 v189, 0x3f3d2fb0, v58
	v_add_f32_e32 v40, v40, v39
	v_add_f32_e32 v39, v182, v38
	v_fmamk_f32 v38, v49, 0xbf7ba420, v188
	v_mul_f32_e32 v182, 0x3eb8f4ab, v46
	v_add_f32_e32 v179, v185, v179
	v_fmamk_f32 v185, v127, 0xbf2c7751, v189
	v_mul_f32_e32 v190, 0xbf1a4643, v66
	v_add_f32_e32 v38, v38, v4
	v_fmamk_f32 v191, v51, 0x3f6eb680, v182
	v_mul_f32_e32 v192, 0xbf06c442, v47
	v_add_f32_e32 v179, v185, v179
	v_fmamk_f32 v185, v132, 0x3f4c4adb, v190
	v_mul_f32_e32 v193, 0x3ee437d1, v67
	v_mul_f32_e32 v184, 0xbf763a35, v141
	v_add_f32_e32 v38, v191, v38
	v_fmamk_f32 v191, v53, 0xbf59a7d5, v192
	v_mul_f32_e32 v194, 0x3f2c7751, v116
	v_add_f32_e32 v179, v185, v179
	v_fmamk_f32 v185, v129, 0xbf65296c, v193
	v_mul_f32_e32 v195, 0xbe8c1d8e, v77
	v_fmac_f32_e32 v41, 0xbe3c28d5, v45
	v_fmamk_f32 v187, v82, 0xbe8c1d8e, v184
	v_add_f32_e32 v191, v191, v38
	v_fmamk_f32 v196, v57, 0x3f3d2fb0, v194
	v_mul_f32_e32 v197, 0xbf4c4adb, v119
	v_add_f32_e32 v179, v185, v179
	v_fmamk_f32 v185, v133, 0x3f763a35, v195
	v_fma_f32 v188, 0xbf7ba420, v49, -v188
	v_add_f32_e32 v41, v41, v5
	v_fmac_f32_e32 v183, 0x3eb8f4ab, v115
	v_add_f32_e32 v38, v187, v40
	v_add_f32_e32 v40, v196, v191
	v_fmamk_f32 v187, v61, 0xbf1a4643, v197
	v_add_f32_e32 v179, v185, v179
	v_mul_f32_e32 v185, 0x3f65296c, v126
	v_add_f32_e32 v188, v188, v4
	v_fma_f32 v182, 0x3f6eb680, v51, -v182
	v_add_f32_e32 v41, v183, v41
	v_fmac_f32_e32 v186, 0xbf06c442, v118
	v_add_f32_e32 v40, v187, v40
	v_fmamk_f32 v187, v65, 0x3ee437d1, v185
	v_mul_f32_e32 v191, 0xbf763a35, v130
	v_add_f32_e32 v182, v182, v188
	v_fma_f32 v183, 0xbf59a7d5, v53, -v192
	v_add_f32_e32 v41, v186, v41
	v_fmac_f32_e32 v189, 0x3f2c7751, v127
	v_add_f32_e32 v40, v187, v40
	v_fmamk_f32 v187, v71, 0xbe8c1d8e, v191
	;; [unrolled: 7-line block ×3, first 2 shown]
	v_add_f32_e32 v182, v183, v182
	v_fma_f32 v183, 0xbf1a4643, v61, -v197
	v_mul_f32_e32 v188, 0x3f7ee86f, v141
	v_add_f32_e32 v189, v190, v41
	v_fmac_f32_e32 v193, 0x3f65296c, v129
	v_fmac_f32_e32 v42, 0xbf06c442, v45
	v_add_f32_e32 v41, v187, v179
	v_add_f32_e32 v179, v183, v182
	v_fma_f32 v182, 0x3ee437d1, v65, -v185
	v_fmamk_f32 v183, v82, 0x3dbcf732, v188
	v_add_f32_e32 v185, v193, v189
	v_fmac_f32_e32 v195, 0xbf763a35, v133
	v_add_f32_e32 v42, v42, v5
	v_fmac_f32_e32 v43, 0x3f65296c, v115
	v_fma_f32 v169, 0xbf59a7d5, v49, -v169
	v_add_f32_e32 v40, v183, v40
	v_add_f32_e32 v183, v195, v185
	v_fmac_f32_e32 v168, 0xbf7ee86f, v118
	v_add_f32_e32 v185, v43, v42
	v_add_f32_e32 v169, v169, v4
	v_fma_f32 v172, 0x3ee437d1, v51, -v172
	v_fmac_f32_e32 v170, 0x3f4c4adb, v127
	v_fmac_f32_e32 v171, 0xbeb8f4ab, v132
	v_add_f32_e32 v168, v168, v185
	v_fmac_f32_e32 v177, 0xbe3c28d5, v129
	v_add_f32_e32 v169, v172, v169
	v_fma_f32 v172, 0x3dbcf732, v53, -v173
	v_mul_f32_e32 v115, 0x3f763a35, v115
	v_add_f32_e32 v168, v170, v168
	v_fma_f32 v170, 0xbf1a4643, v57, -v175
	v_mul_f32_e32 v118, 0xbeb8f4ab, v118
	v_add_f32_e32 v169, v172, v169
	v_mul_f32_e32 v127, 0xbf06c442, v127
	v_add_f32_e32 v171, v171, v168
	v_mul_f32_e32 v168, 0xbf4c4adb, v45
	v_mul_f32_e32 v132, 0x3f7ee86f, v132
	v_add_f32_e32 v169, v170, v169
	v_fma_f32 v170, 0x3f6eb680, v61, -v176
	v_add_f32_e32 v45, v177, v171
	v_fma_f32 v171, 0xbf7ba420, v65, -v174
	v_fmamk_f32 v174, v52, 0xbe8c1d8e, v115
	v_fmac_f32_e32 v186, 0x3f7ee86f, v142
	v_add_f32_e32 v169, v170, v169
	v_fmamk_f32 v170, v50, 0xbf1a4643, v168
	v_mul_f32_e32 v129, 0xbf2c7751, v129
	v_mul_f32_e32 v116, 0xbf06c442, v116
	v_add_f32_e32 v43, v186, v183
	v_add_f32_e32 v169, v171, v169
	v_add_f32_e32 v170, v170, v5
	v_fma_f32 v171, 0x3f3d2fb0, v71, -v180
	v_fma_f32 v180, 0xbe8c1d8e, v82, -v184
	v_mul_f32_e32 v119, 0x3f7ee86f, v119
	v_mul_f32_e32 v126, 0xbf2c7751, v126
	v_add_f32_e32 v170, v174, v170
	v_fmamk_f32 v174, v56, 0x3f6eb680, v118
	v_add_f32_e32 v171, v171, v169
	v_mul_f32_e32 v169, 0xbf4c4adb, v44
	v_fmac_f32_e32 v178, 0x3f2c7751, v133
	v_mul_f32_e32 v133, 0xbe3c28d5, v133
	v_add_f32_e32 v170, v174, v170
	v_fmamk_f32 v174, v58, 0xbf59a7d5, v127
	v_add_f32_e32 v44, v180, v171
	v_fma_f32 v180, 0xbf1a4643, v49, -v169
	v_mul_f32_e32 v130, 0xbe3c28d5, v130
	v_add_f32_e32 v45, v178, v45
	v_add_f32_e32 v171, v174, v170
	v_fmamk_f32 v174, v66, 0x3dbcf732, v132
	v_mul_f32_e32 v170, 0x3f763a35, v46
	v_mul_f32_e32 v46, 0xbe8c1d8e, v50
	v_add_f32_e32 v180, v180, v4
	v_fmac_f32_e32 v181, 0xbf763a35, v142
	v_add_f32_e32 v174, v174, v171
	v_fma_f32 v183, 0xbe8c1d8e, v51, -v170
	v_mul_f32_e32 v171, 0xbeb8f4ab, v47
	v_add_f32_e32 v46, v160, v46
	v_mul_f32_e32 v47, 0xbf59a7d5, v52
	v_add_f32_e32 v45, v181, v45
	v_add_f32_e32 v160, v183, v180
	v_fma_f32 v180, 0x3f6eb680, v53, -v171
	v_add_f32_e32 v46, v46, v5
	v_add_f32_e32 v47, v161, v47
	v_mul_f32_e32 v161, 0x3f3d2fb0, v56
	v_mul_f32_e32 v183, 0x3f65296c, v142
	v_add_f32_e32 v160, v180, v160
	v_fmamk_f32 v180, v67, 0x3f3d2fb0, v129
	v_add_f32_e32 v46, v47, v46
	v_fma_f32 v47, 0xbf59a7d5, v57, -v116
	v_add_f32_e32 v161, v163, v161
	v_fma_f32 v142, 0xbf7ba420, v71, -v130
	v_add_f32_e32 v174, v180, v174
	v_mul_f32_e32 v180, 0x3ee437d1, v58
	v_add_f32_e32 v47, v47, v160
	v_fma_f32 v160, 0x3dbcf732, v61, -v119
	v_add_f32_e32 v46, v161, v46
	v_mul_f32_e32 v181, 0xbe8c1d8e, v49
	v_add_f32_e32 v164, v164, v180
	v_mul_f32_e32 v180, 0xbf7ba420, v66
	;; [unrolled: 2-line block ×3, first 2 shown]
	v_sub_f32_e32 v159, v181, v159
	v_add_f32_e32 v46, v164, v46
	v_fma_f32 v164, 0x3f3d2fb0, v65, -v126
	v_add_f32_e32 v165, v165, v180
	v_mul_f32_e32 v180, 0x3dbcf732, v67
	v_add_f32_e32 v149, v149, v178
	v_add_f32_e32 v159, v159, v4
	;; [unrolled: 1-line block ×3, first 2 shown]
	v_fmamk_f32 v164, v77, 0xbf7ba420, v133
	v_add_f32_e32 v46, v165, v46
	v_mul_f32_e32 v165, 0x3f65296c, v141
	v_add_f32_e32 v141, v166, v180
	v_add_f32_e32 v142, v142, v47
	;; [unrolled: 1-line block ×3, first 2 shown]
	v_fmamk_f32 v174, v83, 0x3ee437d1, v183
	v_fma_f32 v180, 0x3ee437d1, v82, -v165
	v_add_f32_e32 v141, v141, v46
	v_add_f32_e32 v149, v149, v5
	v_mul_f32_e32 v166, 0x3f6eb680, v77
	v_add_f32_e32 v47, v174, v164
	v_add_f32_e32 v46, v180, v142
	v_mul_f32_e32 v142, 0xbf1a4643, v83
	v_mul_f32_e32 v174, 0xbf59a7d5, v51
	;; [unrolled: 1-line block ×4, first 2 shown]
	v_add_f32_e32 v166, v167, v166
	v_add_f32_e32 v142, v162, v142
	v_mul_f32_e32 v162, 0xbf7ba420, v52
	v_sub_f32_e32 v153, v174, v153
	v_mul_f32_e32 v174, 0x3f3d2fb0, v53
	v_mul_f32_e32 v164, 0xbf1a4643, v52
	v_add_f32_e32 v141, v166, v141
	v_add_f32_e32 v150, v150, v162
	;; [unrolled: 1-line block ×3, first 2 shown]
	v_mul_f32_e32 v159, 0xbe8c1d8e, v56
	v_sub_f32_e32 v154, v174, v154
	v_mul_f32_e32 v166, 0xbf7ba420, v51
	v_add_f32_e32 v149, v150, v149
	v_mul_f32_e32 v150, 0x3ee437d1, v57
	v_add_f32_e32 v145, v145, v159
	v_add_f32_e32 v153, v154, v153
	v_mul_f32_e32 v154, 0x3f6eb680, v58
	v_sub_f32_e32 v134, v177, v134
	v_sub_f32_e32 v150, v150, v155
	v_add_f32_e32 v145, v145, v149
	v_mul_f32_e32 v149, 0xbf7ba420, v61
	v_add_f32_e32 v146, v146, v154
	v_add_f32_e32 v120, v120, v176
	;; [unrolled: 1-line block ×3, first 2 shown]
	v_mul_f32_e32 v153, 0x3ee437d1, v66
	v_sub_f32_e32 v149, v149, v156
	v_add_f32_e32 v145, v146, v145
	v_mul_f32_e32 v154, 0xbf7ba420, v56
	v_mul_f32_e32 v156, 0xbe8c1d8e, v53
	v_add_f32_e32 v147, v147, v153
	v_add_f32_e32 v149, v149, v150
	v_mul_f32_e32 v150, 0xbf59a7d5, v67
	v_add_f32_e32 v134, v134, v4
	v_sub_f32_e32 v135, v166, v135
	v_add_f32_e32 v145, v147, v145
	v_mul_f32_e32 v147, 0x3f6eb680, v71
	v_add_f32_e32 v148, v148, v150
	v_add_f32_e32 v121, v121, v164
	;; [unrolled: 1-line block ×4, first 2 shown]
	v_sub_f32_e32 v147, v147, v158
	v_mul_f32_e32 v158, 0xbf1a4643, v82
	v_add_f32_e32 v145, v148, v145
	v_mul_f32_e32 v148, 0xbf1a4643, v77
	v_sub_f32_e32 v136, v156, v136
	v_add_f32_e32 v120, v121, v120
	v_sub_f32_e32 v152, v158, v152
	v_mul_f32_e32 v158, 0xbe8c1d8e, v58
	v_add_f32_e32 v148, v151, v148
	v_mul_f32_e32 v151, 0x3f6eb680, v57
	v_add_f32_e32 v122, v122, v154
	v_mul_f32_e32 v166, 0x3f3d2fb0, v66
	v_mul_f32_e32 v164, 0x3ee437d1, v61
	v_add_f32_e32 v134, v136, v134
	v_sub_f32_e32 v137, v151, v137
	v_add_f32_e32 v120, v122, v120
	v_add_f32_e32 v123, v123, v158
	v_mul_f32_e32 v151, 0x3f6eb680, v67
	v_sub_f32_e32 v138, v164, v138
	v_add_f32_e32 v134, v137, v134
	v_add_f32_e32 v124, v124, v166
	;; [unrolled: 1-line block ×4, first 2 shown]
	v_fma_f32 v182, 0xbe8c1d8e, v71, -v191
	v_mul_f32_e32 v175, 0x3ee437d1, v49
	v_mul_f32_e32 v146, 0x3dbcf732, v65
	v_add_f32_e32 v134, v138, v134
	v_mul_f32_e32 v138, 0x3dbcf732, v77
	v_add_f32_e32 v120, v124, v120
	v_add_f32_e32 v125, v125, v151
	;; [unrolled: 1-line block ×3, first 2 shown]
	v_fma_f32 v182, 0x3dbcf732, v82, -v188
	v_mul_f32_e32 v172, 0x3f3d2fb0, v50
	v_mul_f32_e32 v167, 0xbf1a4643, v51
	v_sub_f32_e32 v146, v146, v157
	v_add_f32_e32 v120, v125, v120
	v_add_f32_e32 v128, v128, v138
	v_sub_f32_e32 v175, v175, v114
	v_add_f32_e32 v42, v182, v179
	v_mul_f32_e32 v182, 0x3f3d2fb0, v49
	v_mul_f32_e32 v184, 0x3dbcf732, v52
	;; [unrolled: 1-line block ×3, first 2 shown]
	v_add_f32_e32 v146, v146, v149
	v_add_f32_e32 v98, v98, v172
	;; [unrolled: 1-line block ×4, first 2 shown]
	v_sub_f32_e32 v111, v167, v111
	v_mul_f32_e32 v160, 0x3dbcf732, v51
	v_mul_f32_e32 v159, 0xbf1a4643, v56
	v_add_f32_e32 v146, v147, v146
	v_mul_f32_e32 v147, 0xbe8c1d8e, v57
	v_add_f32_e32 v98, v98, v5
	v_add_f32_e32 v100, v100, v184
	v_sub_f32_e32 v88, v182, v88
	v_add_f32_e32 v111, v111, v128
	v_sub_f32_e32 v104, v155, v104
	v_mul_f32_e32 v174, 0xbf1a4643, v53
	v_mul_f32_e32 v149, 0xbf7ba420, v58
	v_add_f32_e32 v142, v142, v141
	v_add_f32_e32 v141, v152, v146
	v_mul_f32_e32 v152, 0x3f3d2fb0, v83
	v_mul_f32_e32 v176, 0x3f3d2fb0, v61
	v_add_f32_e32 v98, v100, v98
	v_add_f32_e32 v94, v94, v159
	;; [unrolled: 1-line block ×3, first 2 shown]
	v_sub_f32_e32 v89, v160, v89
	v_add_f32_e32 v100, v104, v111
	v_sub_f32_e32 v104, v147, v109
	v_mul_f32_e32 v150, 0xbf7ba420, v57
	v_add_f32_e32 v144, v144, v152
	v_mul_f32_e32 v152, 0xbf59a7d5, v66
	v_mul_f32_e32 v136, 0x3f6eb680, v65
	v_add_f32_e32 v94, v94, v98
	v_add_f32_e32 v96, v96, v149
	;; [unrolled: 1-line block ×3, first 2 shown]
	v_sub_f32_e32 v89, v174, v90
	v_add_f32_e32 v90, v104, v100
	v_sub_f32_e32 v98, v176, v110
	v_mul_f32_e32 v177, 0xbf59a7d5, v61
	v_mul_f32_e32 v154, 0xbe8c1d8e, v67
	;; [unrolled: 1-line block ×3, first 2 shown]
	v_add_f32_e32 v94, v96, v94
	v_add_f32_e32 v96, v99, v152
	;; [unrolled: 1-line block ×3, first 2 shown]
	v_sub_f32_e32 v89, v150, v91
	v_add_f32_e32 v90, v98, v90
	v_sub_f32_e32 v91, v136, v112
	v_mul_f32_e32 v173, 0x3f6eb680, v50
	v_mul_f32_e32 v121, 0xbe8c1d8e, v65
	;; [unrolled: 1-line block ×4, first 2 shown]
	v_add_f32_e32 v94, v96, v94
	v_add_f32_e32 v96, v101, v154
	;; [unrolled: 1-line block ×3, first 2 shown]
	v_sub_f32_e32 v89, v177, v93
	v_add_f32_e32 v90, v91, v90
	v_sub_f32_e32 v91, v166, v113
	v_add_f32_e32 v7, v7, v5
	v_mul_f32_e32 v161, 0x3f3d2fb0, v52
	v_add_f32_e32 v93, v96, v94
	v_add_f32_e32 v88, v89, v88
	v_sub_f32_e32 v89, v121, v95
	v_add_f32_e32 v90, v91, v90
	v_sub_f32_e32 v91, v125, v117
	v_sub_f32_e32 v96, v164, v97
	v_add_f32_e32 v97, v64, v173
	v_add_f32_e32 v7, v21, v7
	;; [unrolled: 1-line block ×3, first 2 shown]
	v_mul_f32_e32 v162, 0x3ee437d1, v56
	v_add_f32_e32 v95, v89, v88
	v_add_f32_e32 v88, v91, v90
	;; [unrolled: 1-line block ×6, first 2 shown]
	v_mul_f32_e32 v157, 0x3dbcf732, v58
	v_add_f32_e32 v145, v148, v145
	v_add_f32_e32 v21, v60, v91
	;; [unrolled: 1-line block ×5, first 2 shown]
	v_mul_f32_e32 v148, 0xbe8c1d8e, v66
	v_mul_f32_e32 v156, 0xbf1a4643, v67
	v_add_f32_e32 v20, v60, v21
	v_add_f32_e32 v21, v70, v157
	v_add_f32_e32 v7, v35, v7
	v_add_f32_e32 v6, v32, v6
	v_mul_f32_e32 v137, 0xbf59a7d5, v77
	v_mul_f32_e32 v151, 0xbf7ba420, v83
	v_add_f32_e32 v20, v21, v20
	v_add_f32_e32 v21, v80, v148
	v_add_f32_e32 v7, v29, v7
	v_add_f32_e32 v6, v34, v6
	v_mul_f32_e32 v179, 0x3f6eb680, v49
	v_mul_f32_e32 v163, 0x3f3d2fb0, v51
	v_add_f32_e32 v20, v21, v20
	v_add_f32_e32 v21, v81, v156
	v_add_f32_e32 v7, v31, v7
	v_add_f32_e32 v6, v28, v6
	v_sub_f32_e32 v62, v179, v62
	v_mul_f32_e32 v178, 0x3ee437d1, v53
	v_add_f32_e32 v20, v21, v20
	v_add_f32_e32 v21, v85, v137
	;; [unrolled: 1-line block ×5, first 2 shown]
	v_sub_f32_e32 v59, v163, v59
	v_add_f32_e32 v20, v21, v20
	v_add_f32_e32 v7, v27, v7
	v_add_f32_e32 v21, v87, v151
	v_add_f32_e32 v6, v24, v6
	v_fmac_f32_e32 v169, 0xbf1a4643, v49
	v_mul_f32_e32 v153, 0x3dbcf732, v57
	v_add_f32_e32 v17, v17, v7
	v_add_f32_e32 v7, v21, v20
	;; [unrolled: 1-line block ×3, first 2 shown]
	v_fma_f32 v21, 0xbf1a4643, v50, -v168
	v_add_f32_e32 v59, v59, v62
	v_sub_f32_e32 v23, v178, v63
	v_add_f32_e32 v17, v19, v17
	v_add_f32_e32 v16, v16, v20
	v_add_f32_e32 v5, v21, v5
	v_fma_f32 v19, 0xbe8c1d8e, v52, -v115
	v_add_f32_e32 v4, v169, v4
	v_fmac_f32_e32 v170, 0xbe8c1d8e, v51
	v_add_f32_e32 v16, v18, v16
	v_mul_f32_e32 v146, 0xbe8c1d8e, v61
	v_add_f32_e32 v23, v23, v59
	v_sub_f32_e32 v22, v153, v68
	v_add_f32_e32 v13, v13, v17
	v_add_f32_e32 v5, v19, v5
	v_fma_f32 v17, 0x3f6eb680, v56, -v118
	v_add_f32_e32 v4, v170, v4
	v_fmac_f32_e32 v171, 0x3f6eb680, v53
	v_add_f32_e32 v12, v12, v16
	v_mul_f32_e32 v135, 0xbf1a4643, v65
	v_add_f32_e32 v22, v22, v23
	v_sub_f32_e32 v23, v146, v78
	v_add_f32_e32 v13, v15, v13
	v_add_f32_e32 v5, v17, v5
	v_fma_f32 v15, 0xbf59a7d5, v58, -v127
	v_add_f32_e32 v4, v171, v4
	v_fmac_f32_e32 v116, 0xbf59a7d5, v57
	v_add_f32_e32 v12, v14, v12
	v_mul_f32_e32 v122, 0xbf59a7d5, v65
	v_mul_f32_e32 v158, 0xbf59a7d5, v71
	v_add_f32_e32 v22, v23, v22
	v_sub_f32_e32 v23, v135, v79
	v_add_f32_e32 v9, v9, v13
	v_add_f32_e32 v5, v15, v5
	v_fma_f32 v13, 0x3dbcf732, v66, -v132
	v_add_f32_e32 v4, v116, v4
	v_fmac_f32_e32 v119, 0x3dbcf732, v61
	v_add_f32_e32 v8, v8, v12
	v_mul_f32_e32 v123, 0x3ee437d1, v77
	v_sub_f32_e32 v122, v122, v139
	v_mul_f32_e32 v139, 0xbf1a4643, v71
	v_mul_f32_e32 v124, 0xbf7ba420, v82
	v_add_f32_e32 v22, v23, v22
	v_sub_f32_e32 v23, v158, v84
	v_add_f32_e32 v9, v11, v9
	v_add_f32_e32 v11, v13, v5
	v_fma_f32 v12, 0x3f3d2fb0, v67, -v129
	v_add_f32_e32 v4, v119, v4
	v_fmac_f32_e32 v126, 0x3f3d2fb0, v65
	v_add_f32_e32 v8, v10, v8
	v_mul_lo_u16 v10, v107, 17
	v_add_f32_e32 v122, v122, v134
	v_mul_f32_e32 v134, 0x3f6eb680, v82
	v_sub_f32_e32 v139, v139, v140
	v_mul_f32_e32 v140, 0x3f6eb680, v83
	v_mul_f32_e32 v180, 0xbf59a7d5, v83
	v_add_f32_e32 v94, v102, v123
	v_mul_f32_e32 v138, 0x3f3d2fb0, v82
	v_add_f32_e32 v22, v23, v22
	v_sub_f32_e32 v23, v124, v86
	v_add_f32_e32 v5, v37, v9
	v_add_f32_e32 v9, v12, v11
	v_fma_f32 v11, 0xbf7ba420, v77, -v133
	v_add_f32_e32 v12, v126, v4
	v_fmac_f32_e32 v130, 0xbf7ba420, v71
	v_add_f32_e32 v4, v36, v8
	v_and_b32_e32 v8, 0xffff, v10
	v_add_f32_e32 v131, v131, v180
	v_add_f32_e32 v93, v94, v93
	;; [unrolled: 1-line block ×4, first 2 shown]
	v_sub_f32_e32 v92, v134, v92
	v_add_f32_e32 v122, v139, v122
	v_sub_f32_e32 v138, v138, v143
	v_add_f32_e32 v6, v23, v22
	v_add_f32_e32 v9, v11, v9
	v_fma_f32 v10, 0x3ee437d1, v83, -v183
	v_add_f32_e32 v11, v130, v12
	v_fmac_f32_e32 v165, 0x3ee437d1, v82
	v_add_lshl_u32 v12, v48, v8, 3
	v_add_f32_e32 v89, v131, v120
	v_add_f32_e32 v64, v94, v93
	;; [unrolled: 1-line block ×7, first 2 shown]
	ds_write2_b64 v12, v[4:5], v[6:7] offset1:1
	ds_write2_b64 v12, v[63:64], v[88:89] offset0:2 offset1:3
	ds_write2_b64 v12, v[113:114], v[141:142] offset0:4 offset1:5
	;; [unrolled: 1-line block ×7, first 2 shown]
	ds_write_b64 v12, v[2:3] offset:128
.LBB0_7:
	s_or_b32 exec_lo, exec_lo, s4
	v_and_b32_e32 v4, 0xff, v107
	v_add_nc_u16 v46, v107, 0x66
	v_add_co_u32 v47, null, 0xcc, v107
	v_mov_b32_e32 v5, 0xf0f1
	v_mul_lo_u16 v4, 0xf1, v4
	v_and_b32_e32 v44, 0xff, v46
	v_mov_b32_e32 v9, 4
	s_load_dwordx4 s[4:7], s[0:1], 0x0
	v_mul_u32_u24_sdwa v6, v47, v5 dst_sel:DWORD dst_unused:UNUSED_PAD src0_sel:WORD_0 src1_sel:DWORD
	v_lshrrev_b16 v45, 12, v4
	v_add_co_u32 v4, null, 0x132, v107
	v_mul_lo_u16 v7, 0xf1, v44
	v_lshrrev_b32_e32 v49, 20, v6
	v_mul_lo_u16 v8, v45, 17
	v_mul_u32_u24_sdwa v5, v4, v5 dst_sel:DWORD dst_unused:UNUSED_PAD src0_sel:WORD_0 src1_sel:DWORD
	s_waitcnt lgkmcnt(0)
	v_lshrrev_b16 v50, 12, v7
	s_barrier
	v_sub_nc_u16 v51, v107, v8
	v_lshrrev_b32_e32 v52, 20, v5
	v_mul_lo_u16 v5, v49, 17
	v_mul_lo_u16 v6, v50, 17
	buffer_gl0_inv
	v_lshlrev_b32_sdwa v7, v9, v51 dst_sel:DWORD dst_unused:UNUSED_PAD src0_sel:DWORD src1_sel:BYTE_0
	v_mul_lo_u16 v8, v52, 17
	v_sub_nc_u16 v53, v47, v5
	v_sub_nc_u16 v56, v46, v6
	v_mov_b32_e32 v5, 3
	global_load_dwordx4 v[12:15], v7, s[2:3]
	v_sub_nc_u16 v57, v4, v8
	v_lshlrev_b16 v4, 1, v53
	v_lshlrev_b32_sdwa v6, v9, v56 dst_sel:DWORD dst_unused:UNUSED_PAD src0_sel:DWORD src1_sel:BYTE_0
	v_mov_b32_e32 v25, 0xa0a1
	v_add_lshl_u32 v109, v48, v107, 3
	v_subrev_nc_u32_e32 v24, 51, v107
	v_lshlrev_b32_sdwa v4, v5, v4 dst_sel:DWORD dst_unused:UNUSED_PAD src0_sel:DWORD src1_sel:WORD_0
	global_load_dwordx4 v[16:19], v6, s[2:3]
	v_lshlrev_b16 v7, 1, v57
	v_cmp_gt_u16_e64 s0, 51, v107
	v_mul_u32_u24_sdwa v60, v47, v25 dst_sel:DWORD dst_unused:UNUSED_PAD src0_sel:WORD_0 src1_sel:DWORD
	v_add_nc_u32_e32 v62, 0x800, v109
	v_add_nc_u32_e32 v64, 0x1800, v109
	v_lshlrev_b32_sdwa v5, v5, v7 dst_sel:DWORD dst_unused:UNUSED_PAD src0_sel:DWORD src1_sel:WORD_0
	s_clause 0x1
	global_load_dwordx4 v[8:11], v4, s[2:3]
	global_load_dwordx4 v[4:7], v5, s[2:3]
	v_cndmask_b32_e64 v59, v24, v107, s0
	v_mov_b32_e32 v58, 51
	v_add_nc_u32_e32 v63, 0x400, v109
	v_lshrrev_b32_e32 v60, 21, v60
	v_add_nc_u32_e32 v65, 0x1000, v109
	v_add_nc_u32_e32 v68, 0x1c00, v109
	ds_read2_b64 v[20:23], v109 offset1:102
	ds_read2_b64 v[24:27], v62 offset0:152 offset1:254
	ds_read2_b64 v[28:31], v64 offset0:48 offset1:150
	;; [unrolled: 1-line block ×5, first 2 shown]
	v_mul_lo_u16 v44, 0xa1, v44
	v_mul_i32_i24_e32 v66, 24, v59
	v_mul_hi_i32_i24_e32 v61, 24, v59
	v_mul_u32_u24_sdwa v67, v45, v58 dst_sel:DWORD dst_unused:UNUSED_PAD src0_sel:WORD_0 src1_sel:DWORD
	v_mul_lo_u16 v70, v60, 51
	v_lshrrev_b16 v69, 13, v44
	v_add_co_u32 v44, s0, s2, v66
	v_add_co_ci_u32_e64 v45, s0, s3, v61, s0
	v_mul_u32_u24_sdwa v50, v50, v58 dst_sel:DWORD dst_unused:UNUSED_PAD src0_sel:WORD_0 src1_sel:DWORD
	v_sub_nc_u16 v61, v47, v70
	v_add_nc_u32_sdwa v47, v67, v51 dst_sel:DWORD dst_unused:UNUSED_PAD src0_sel:DWORD src1_sel:BYTE_0
	v_mad_u16 v49, v49, 51, v53
	v_mad_u16 v51, v52, 51, v57
	v_mul_lo_u16 v58, v69, 51
	v_mul_lo_u16 v52, v61, 24
	v_add_lshl_u32 v113, v48, v47, 3
	v_add_nc_u32_sdwa v47, v50, v56 dst_sel:DWORD dst_unused:UNUSED_PAD src0_sel:DWORD src1_sel:BYTE_0
	v_and_b32_e32 v49, 0xffff, v49
	v_and_b32_e32 v50, 0xffff, v51
	v_sub_nc_u16 v46, v46, v58
	v_and_b32_e32 v52, 0xffff, v52
	v_add_lshl_u32 v114, v48, v47, 3
	v_add_lshl_u32 v112, v48, v49, 3
	;; [unrolled: 1-line block ×3, first 2 shown]
	v_and_b32_e32 v51, 0xff, v46
	s_waitcnt vmcnt(0) lgkmcnt(0)
	s_barrier
	buffer_gl0_inv
	v_lshl_add_u32 v110, v107, 3, v108
	v_mad_u64_u32 v[46:47], null, v51, 24, s[2:3]
	v_lshl_add_u32 v115, v107, 3, v108
	v_add_nc_u32_e32 v96, 0x1400, v110
	v_mul_f32_e32 v49, v25, v13
	v_mul_f32_e32 v50, v24, v13
	;; [unrolled: 1-line block ×4, first 2 shown]
	v_fma_f32 v24, v24, v12, -v49
	v_fmac_f32_e32 v50, v25, v12
	v_fma_f32 v25, v28, v14, -v53
	v_fmac_f32_e32 v56, v29, v14
	v_mul_f32_e32 v28, v27, v17
	v_mul_f32_e32 v29, v26, v17
	;; [unrolled: 1-line block ×4, first 2 shown]
	v_fma_f32 v26, v26, v16, -v28
	v_fmac_f32_e32 v29, v27, v16
	v_fma_f32 v28, v30, v18, -v49
	v_mul_f32_e32 v57, v37, v9
	v_mul_f32_e32 v70, v39, v5
	;; [unrolled: 1-line block ×8, first 2 shown]
	v_fmac_f32_e32 v53, v31, v18
	v_fma_f32 v31, v38, v4, -v70
	v_add_f32_e32 v38, v24, v25
	v_fma_f32 v27, v36, v8, -v57
	v_fmac_f32_e32 v58, v37, v8
	v_fma_f32 v30, v40, v10, -v66
	v_fmac_f32_e32 v67, v41, v10
	v_add_f32_e32 v37, v20, v24
	v_add_f32_e32 v40, v21, v50
	v_fmac_f32_e32 v71, v39, v4
	v_fma_f32 v36, v42, v6, -v77
	v_fmac_f32_e32 v78, v43, v6
	v_add_f32_e32 v41, v50, v56
	v_fma_f32 v20, -0.5, v38, v20
	v_add_f32_e32 v38, v26, v28
	v_add_f32_e32 v43, v29, v53
	v_sub_f32_e32 v39, v50, v56
	v_sub_f32_e32 v42, v24, v25
	v_add_f32_e32 v24, v37, v25
	v_add_f32_e32 v25, v40, v56
	;; [unrolled: 1-line block ×3, first 2 shown]
	v_sub_f32_e32 v57, v58, v67
	v_add_f32_e32 v66, v33, v58
	v_add_f32_e32 v58, v58, v67
	v_fma_f32 v21, -0.5, v41, v21
	v_add_f32_e32 v79, v31, v36
	v_sub_f32_e32 v80, v71, v78
	v_add_f32_e32 v81, v35, v71
	v_add_f32_e32 v71, v71, v78
	v_add_f32_e32 v37, v22, v26
	v_sub_f32_e32 v40, v29, v53
	v_add_f32_e32 v41, v23, v29
	v_sub_f32_e32 v49, v26, v28
	v_fma_f32 v22, -0.5, v38, v22
	v_fmac_f32_e32 v23, -0.5, v43
	v_add_f32_e32 v50, v32, v27
	v_sub_f32_e32 v70, v27, v30
	v_fma_f32 v32, -0.5, v56, v32
	v_fma_f32 v33, -0.5, v58, v33
	v_add_f32_e32 v77, v34, v31
	v_sub_f32_e32 v82, v31, v36
	v_fmamk_f32 v26, v39, 0x3f5db3d7, v20
	v_fmamk_f32 v27, v42, 0xbf5db3d7, v21
	v_fma_f32 v34, -0.5, v79, v34
	v_fmac_f32_e32 v35, -0.5, v71
	v_fmac_f32_e32 v20, 0xbf5db3d7, v39
	v_fmac_f32_e32 v21, 0x3f5db3d7, v42
	v_add_f32_e32 v28, v37, v28
	v_add_f32_e32 v29, v41, v53
	v_fmamk_f32 v38, v40, 0x3f5db3d7, v22
	v_fmamk_f32 v39, v49, 0xbf5db3d7, v23
	v_fmac_f32_e32 v22, 0xbf5db3d7, v40
	v_fmac_f32_e32 v23, 0x3f5db3d7, v49
	v_add_f32_e32 v30, v50, v30
	v_add_f32_e32 v31, v66, v67
	v_fmamk_f32 v40, v57, 0x3f5db3d7, v32
	v_fmac_f32_e32 v32, 0xbf5db3d7, v57
	v_fmamk_f32 v41, v70, 0xbf5db3d7, v33
	v_add_f32_e32 v36, v77, v36
	v_add_f32_e32 v37, v81, v78
	v_fmac_f32_e32 v33, 0x3f5db3d7, v70
	v_fmamk_f32 v42, v80, 0x3f5db3d7, v34
	v_fmac_f32_e32 v34, 0xbf5db3d7, v80
	v_fmamk_f32 v43, v82, 0xbf5db3d7, v35
	v_fmac_f32_e32 v35, 0x3f5db3d7, v82
	ds_write2_b64 v113, v[24:25], v[26:27] offset1:17
	ds_write_b64 v113, v[20:21] offset:272
	ds_write2_b64 v114, v[28:29], v[38:39] offset1:17
	ds_write_b64 v114, v[22:23] offset:272
	;; [unrolled: 2-line block ×4, first 2 shown]
	v_add_co_u32 v32, s0, s2, v52
	v_add_co_ci_u32_e64 v33, null, s3, 0, s0
	s_waitcnt lgkmcnt(0)
	s_barrier
	buffer_gl0_inv
	s_clause 0x5
	global_load_dwordx4 v[28:31], v[44:45], off offset:272
	global_load_dwordx2 v[81:82], v[44:45], off offset:288
	global_load_dwordx4 v[24:27], v[46:47], off offset:272
	global_load_dwordx2 v[79:80], v[46:47], off offset:288
	;; [unrolled: 2-line block ×3, first 2 shown]
	v_mov_b32_e32 v36, 0xcc
	v_cmp_lt_u16_e64 s0, 50, v107
	v_mad_u16 v52, 0xcc, v60, v61
	ds_read2_b64 v[32:35], v63 offset0:76 offset1:178
	v_mad_u64_u32 v[60:61], null, v107, 40, s[2:3]
	v_cndmask_b32_e64 v49, 0, 0xcc, s0
	v_mul_u32_u24_sdwa v50, v69, v36 dst_sel:DWORD dst_unused:UNUSED_PAD src0_sel:WORD_0 src1_sel:DWORD
	ds_read2_b64 v[36:39], v65 offset0:100 offset1:202
	ds_read2_b64 v[40:43], v64 offset0:48 offset1:150
	;; [unrolled: 1-line block ×3, first 2 shown]
	v_and_b32_e32 v56, 0xffff, v52
	v_add_nc_u32_e32 v53, v59, v49
	v_add_nc_u32_e32 v57, v50, v51
	ds_read2_b64 v[49:52], v68 offset0:124 offset1:226
	v_add_lshl_u32 v116, v48, v56, 3
	v_add_lshl_u32 v118, v48, v53, 3
	;; [unrolled: 1-line block ×3, first 2 shown]
	ds_read2_b64 v[56:59], v109 offset1:102
	s_waitcnt vmcnt(0) lgkmcnt(0)
	s_barrier
	buffer_gl0_inv
	v_mul_f32_e32 v48, v35, v29
	v_mul_f32_e32 v53, v34, v29
	;; [unrolled: 1-line block ×18, first 2 shown]
	v_fma_f32 v34, v34, v28, -v48
	v_fmac_f32_e32 v53, v35, v28
	v_fma_f32 v35, v36, v30, -v66
	v_fmac_f32_e32 v67, v37, v30
	;; [unrolled: 2-line block ×9, first 2 shown]
	v_sub_f32_e32 v43, v56, v35
	v_sub_f32_e32 v44, v57, v67
	v_sub_f32_e32 v35, v34, v36
	v_sub_f32_e32 v36, v53, v70
	v_sub_f32_e32 v45, v58, v38
	v_sub_f32_e32 v46, v59, v85
	v_sub_f32_e32 v38, v37, v39
	v_sub_f32_e32 v39, v83, v87
	v_sub_f32_e32 v48, v32, v40
	v_sub_f32_e32 v49, v33, v91
	v_sub_f32_e32 v40, v42, v41
	v_sub_f32_e32 v41, v89, v93
	v_fma_f32 v50, v56, 2.0, -v43
	v_fma_f32 v51, v57, 2.0, -v44
	;; [unrolled: 1-line block ×4, first 2 shown]
	v_sub_f32_e32 v34, v43, v36
	v_fma_f32 v53, v58, 2.0, -v45
	v_fma_f32 v56, v59, 2.0, -v46
	;; [unrolled: 1-line block ×4, first 2 shown]
	v_add_f32_e32 v35, v44, v35
	v_sub_f32_e32 v36, v45, v39
	v_add_f32_e32 v37, v46, v38
	v_fma_f32 v59, v32, 2.0, -v48
	v_fma_f32 v66, v33, 2.0, -v49
	;; [unrolled: 1-line block ×4, first 2 shown]
	v_sub_f32_e32 v38, v50, v47
	v_sub_f32_e32 v39, v51, v52
	v_add_f32_e32 v33, v49, v40
	v_fma_f32 v40, v43, 2.0, -v34
	v_sub_f32_e32 v42, v53, v57
	v_sub_f32_e32 v43, v56, v58
	v_sub_f32_e32 v32, v48, v41
	v_fma_f32 v41, v44, 2.0, -v35
	v_fma_f32 v44, v45, 2.0, -v36
	;; [unrolled: 1-line block ×3, first 2 shown]
	v_sub_f32_e32 v46, v59, v67
	v_sub_f32_e32 v47, v66, v69
	v_fma_f32 v50, v50, 2.0, -v38
	v_fma_f32 v51, v51, 2.0, -v39
	;; [unrolled: 1-line block ×8, first 2 shown]
	ds_write2_b64 v118, v[38:39], v[34:35] offset0:102 offset1:153
	ds_write2_b64 v118, v[50:51], v[40:41] offset1:51
	ds_write2_b64 v117, v[52:53], v[44:45] offset1:51
	ds_write2_b64 v117, v[42:43], v[36:37] offset0:102 offset1:153
	ds_write2_b64 v116, v[56:57], v[48:49] offset1:51
	ds_write2_b64 v116, v[46:47], v[32:33] offset0:102 offset1:153
	v_add_co_u32 v36, s0, 0x1000, v60
	v_add_co_ci_u32_e64 v37, s0, 0, v61, s0
	v_add_co_u32 v48, s0, 0x15c8, v60
	v_add_co_ci_u32_e64 v49, s0, 0, v61, s0
	s_waitcnt lgkmcnt(0)
	s_barrier
	buffer_gl0_inv
	s_clause 0x5
	global_load_dwordx4 v[32:35], v[60:61], off offset:1512
	global_load_dwordx4 v[40:43], v[60:61], off offset:1496
	global_load_dwordx2 v[85:86], v[60:61], off offset:1528
	global_load_dwordx4 v[44:47], v[36:37], off offset:1480
	global_load_dwordx4 v[36:39], v[48:49], off offset:16
	global_load_dwordx2 v[83:84], v[48:49], off offset:32
	ds_read2_b64 v[48:51], v63 offset0:76 offset1:178
	ds_read2_b64 v[56:59], v62 offset0:152 offset1:254
	;; [unrolled: 1-line block ×5, first 2 shown]
	ds_read2_b64 v[92:95], v109 offset1:102
	v_add_nc_u32_e32 v89, 0x800, v110
	v_add_nc_u32_e32 v90, 0xc00, v110
	v_add_nc_u32_e32 v91, 0x1800, v110
	s_waitcnt vmcnt(5) lgkmcnt(3)
	v_mul_f32_e32 v97, v61, v33
	s_waitcnt vmcnt(4)
	v_mul_f32_e32 v52, v49, v41
	v_mul_f32_e32 v53, v48, v41
	;; [unrolled: 1-line block ×5, first 2 shown]
	s_waitcnt lgkmcnt(2)
	v_mul_f32_e32 v99, v65, v35
	v_mul_f32_e32 v100, v64, v35
	s_waitcnt vmcnt(3) lgkmcnt(1)
	v_mul_f32_e32 v101, v69, v86
	v_mul_f32_e32 v102, v68, v86
	s_waitcnt vmcnt(2)
	v_mul_f32_e32 v104, v50, v45
	v_mul_f32_e32 v119, v59, v47
	;; [unrolled: 1-line block ×3, first 2 shown]
	s_waitcnt vmcnt(1)
	v_mul_f32_e32 v121, v63, v37
	v_mul_f32_e32 v122, v62, v37
	;; [unrolled: 1-line block ×4, first 2 shown]
	s_waitcnt vmcnt(0)
	v_mul_f32_e32 v125, v71, v84
	v_mul_f32_e32 v126, v70, v84
	;; [unrolled: 1-line block ×3, first 2 shown]
	v_fma_f32 v52, v48, v40, -v52
	v_fmac_f32_e32 v53, v49, v40
	v_fma_f32 v48, v56, v42, -v87
	v_fmac_f32_e32 v88, v57, v42
	;; [unrolled: 2-line block ×5, first 2 shown]
	v_fmac_f32_e32 v104, v51, v44
	v_fma_f32 v51, v58, v46, -v119
	v_fmac_f32_e32 v120, v59, v46
	v_fma_f32 v58, v62, v36, -v121
	;; [unrolled: 2-line block ×5, first 2 shown]
	s_waitcnt lgkmcnt(0)
	v_add_f32_e32 v61, v92, v48
	v_add_f32_e32 v62, v48, v56
	v_sub_f32_e32 v63, v88, v100
	v_add_f32_e32 v64, v93, v88
	v_add_f32_e32 v65, v88, v100
	;; [unrolled: 1-line block ×4, first 2 shown]
	v_sub_f32_e32 v68, v98, v102
	v_add_f32_e32 v69, v53, v98
	v_add_f32_e32 v70, v98, v102
	;; [unrolled: 1-line block ×3, first 2 shown]
	v_sub_f32_e32 v97, v120, v124
	v_add_f32_e32 v88, v95, v120
	v_add_f32_e32 v98, v120, v124
	;; [unrolled: 1-line block ×4, first 2 shown]
	v_sub_f32_e32 v48, v48, v56
	v_sub_f32_e32 v49, v49, v57
	v_add_f32_e32 v71, v94, v51
	v_sub_f32_e32 v51, v51, v59
	v_add_f32_e32 v99, v50, v58
	;; [unrolled: 2-line block ×4, first 2 shown]
	v_fma_f32 v61, -0.5, v62, v92
	v_add_f32_e32 v62, v64, v100
	v_fma_f32 v64, -0.5, v65, v93
	v_add_f32_e32 v57, v66, v57
	v_fmac_f32_e32 v52, -0.5, v67
	v_add_f32_e32 v65, v69, v102
	v_fmac_f32_e32 v53, -0.5, v70
	v_fma_f32 v92, -0.5, v87, v94
	v_fmac_f32_e32 v95, -0.5, v98
	v_fmac_f32_e32 v50, -0.5, v101
	;; [unrolled: 1-line block ×3, first 2 shown]
	v_add_f32_e32 v59, v71, v59
	v_add_f32_e32 v66, v88, v124
	;; [unrolled: 1-line block ×4, first 2 shown]
	v_fmamk_f32 v69, v68, 0x3f5db3d7, v52
	v_fmac_f32_e32 v52, 0xbf5db3d7, v68
	v_fmamk_f32 v68, v49, 0xbf5db3d7, v53
	v_fmac_f32_e32 v53, 0x3f5db3d7, v49
	v_add_f32_e32 v87, v56, v57
	v_add_f32_e32 v88, v62, v65
	v_sub_f32_e32 v56, v56, v57
	v_sub_f32_e32 v57, v62, v65
	v_fmamk_f32 v98, v97, 0x3f5db3d7, v92
	v_fmac_f32_e32 v92, 0xbf5db3d7, v97
	v_fmamk_f32 v97, v51, 0xbf5db3d7, v95
	v_fmac_f32_e32 v95, 0x3f5db3d7, v51
	;; [unrolled: 2-line block ×6, first 2 shown]
	v_add_f32_e32 v62, v59, v60
	v_add_f32_e32 v63, v66, v67
	v_sub_f32_e32 v48, v59, v60
	v_sub_f32_e32 v49, v66, v67
	v_mul_f32_e32 v58, 0x3f5db3d7, v68
	v_mul_f32_e32 v59, -0.5, v52
	v_mul_f32_e32 v66, 0xbf5db3d7, v69
	v_mul_f32_e32 v67, -0.5, v53
	;; [unrolled: 2-line block ×4, first 2 shown]
	v_fmac_f32_e32 v58, 0.5, v69
	v_fmac_f32_e32 v59, 0x3f5db3d7, v53
	v_fmac_f32_e32 v66, 0.5, v68
	v_fmac_f32_e32 v67, 0xbf5db3d7, v52
	;; [unrolled: 2-line block ×4, first 2 shown]
	v_add_f32_e32 v68, v93, v58
	v_add_f32_e32 v70, v61, v59
	;; [unrolled: 1-line block ×4, first 2 shown]
	v_sub_f32_e32 v58, v93, v58
	v_sub_f32_e32 v60, v61, v59
	;; [unrolled: 1-line block ×4, first 2 shown]
	v_add_f32_e32 v64, v98, v99
	v_add_f32_e32 v66, v92, v100
	;; [unrolled: 1-line block ×4, first 2 shown]
	v_sub_f32_e32 v50, v98, v99
	v_sub_f32_e32 v52, v92, v100
	;; [unrolled: 1-line block ×4, first 2 shown]
	ds_write_b64 v115, v[87:88]
	ds_write2_b64 v110, v[62:63], v[68:69] offset0:102 offset1:204
	ds_write2_b64 v89, v[64:65], v[70:71] offset0:50 offset1:152
	ds_write2_b64 v90, v[66:67], v[56:57] offset0:126 offset1:228
	ds_write2_b64 v96, v[48:49], v[58:59] offset0:74 offset1:176
	ds_write2_b64 v91, v[50:51], v[60:61] offset0:150 offset1:252
	ds_write_b64 v110, v[52:53] offset:8976
	s_waitcnt lgkmcnt(0)
	s_barrier
	buffer_gl0_inv
	s_and_saveexec_b32 s1, vcc_lo
	s_cbranch_execz .LBB0_9
; %bb.8:
	s_add_u32 s2, s12, 0x2640
	s_addc_u32 s3, s13, 0
	v_add_co_u32 v98, s0, s2, v106
	global_load_dwordx2 v[92:93], v106, s[2:3]
	v_add_co_ci_u32_e64 v99, null, s3, 0, s0
	v_add_co_u32 v94, s0, 0x800, v98
	s_clause 0x2
	global_load_dwordx2 v[139:140], v106, s[2:3] offset:576
	global_load_dwordx2 v[141:142], v106, s[2:3] offset:1152
	;; [unrolled: 1-line block ×3, first 2 shown]
	v_add_co_ci_u32_e64 v95, s0, 0, v99, s0
	v_add_co_u32 v96, s0, 0x1000, v98
	v_add_co_ci_u32_e64 v97, s0, 0, v99, s0
	s_clause 0x3
	global_load_dwordx2 v[145:146], v[94:95], off offset:256
	global_load_dwordx2 v[147:148], v[94:95], off offset:832
	;; [unrolled: 1-line block ×4, first 2 shown]
	v_add_co_u32 v94, s0, 0x1800, v98
	v_add_co_ci_u32_e64 v95, s0, 0, v99, s0
	s_clause 0x4
	global_load_dwordx2 v[153:154], v[96:97], off offset:512
	global_load_dwordx2 v[155:156], v[96:97], off offset:1088
	;; [unrolled: 1-line block ×5, first 2 shown]
	v_add_co_u32 v96, s0, 0x2000, v98
	v_add_co_ci_u32_e64 v97, s0, 0, v99, s0
	v_or_b32_e32 v98, 0x2400, v106
	s_clause 0x3
	global_load_dwordx2 v[163:164], v[94:95], off offset:1344
	global_load_dwordx2 v[165:166], v[94:95], off offset:1920
	;; [unrolled: 1-line block ×3, first 2 shown]
	global_load_dwordx2 v[169:170], v98, s[2:3]
	ds_read_b64 v[94:95], v115
	v_add_nc_u32_e32 v172, 0x400, v110
	v_add_nc_u32_e32 v173, 0x1000, v110
	;; [unrolled: 1-line block ×3, first 2 shown]
	s_waitcnt vmcnt(16) lgkmcnt(0)
	v_mul_f32_e32 v96, v95, v93
	v_mul_f32_e32 v97, v94, v93
	v_fma_f32 v96, v94, v92, -v96
	v_fmac_f32_e32 v97, v95, v92
	ds_write_b64 v115, v[96:97]
	ds_read2_b64 v[92:95], v110 offset0:72 offset1:144
	ds_read2_b64 v[96:99], v172 offset0:88 offset1:160
	;; [unrolled: 1-line block ×8, first 2 shown]
	s_waitcnt vmcnt(15) lgkmcnt(7)
	v_mul_f32_e32 v175, v93, v140
	v_mul_f32_e32 v171, v92, v140
	s_waitcnt vmcnt(14)
	v_mul_f32_e32 v176, v95, v142
	v_mul_f32_e32 v140, v94, v142
	s_waitcnt vmcnt(13) lgkmcnt(6)
	v_mul_f32_e32 v177, v97, v144
	v_mul_f32_e32 v142, v96, v144
	s_waitcnt vmcnt(12)
	v_mul_f32_e32 v178, v99, v146
	v_mul_f32_e32 v144, v98, v146
	;; [unrolled: 6-line block ×8, first 2 shown]
	v_fma_f32 v170, v92, v139, -v175
	v_fmac_f32_e32 v171, v93, v139
	v_fma_f32 v139, v94, v141, -v176
	v_fmac_f32_e32 v140, v95, v141
	;; [unrolled: 2-line block ×16, first 2 shown]
	ds_write2_b64 v110, v[170:171], v[139:140] offset0:72 offset1:144
	ds_write2_b64 v172, v[141:142], v[143:144] offset0:88 offset1:160
	;; [unrolled: 1-line block ×8, first 2 shown]
.LBB0_9:
	s_or_b32 exec_lo, exec_lo, s1
	s_waitcnt lgkmcnt(0)
	s_barrier
	buffer_gl0_inv
	s_and_saveexec_b32 s0, vcc_lo
	s_cbranch_execz .LBB0_11
; %bb.10:
	v_add_nc_u32_e32 v0, 0x1800, v115
	v_add_nc_u32_e32 v1, 0x2000, v115
	;; [unrolled: 1-line block ×4, first 2 shown]
	ds_read_b64 v[87:88], v115
	ds_read2_b64 v[52:55], v0 offset0:24 offset1:96
	ds_read2_b64 v[89:92], v0 offset0:168 offset1:240
	v_add_nc_u32_e32 v50, 0xc00, v115
	v_add_nc_u32_e32 v51, 0x1000, v115
	ds_read2_b64 v[0:3], v1 offset0:56 offset1:128
	ds_read2_b64 v[68:71], v115 offset0:72 offset1:144
	;; [unrolled: 1-line block ×6, first 2 shown]
	s_waitcnt lgkmcnt(7)
	v_mov_b32_e32 v75, v54
	v_mov_b32_e32 v76, v55
	s_waitcnt lgkmcnt(6)
	v_mov_b32_e32 v73, v89
	v_mov_b32_e32 v74, v90
	;; [unrolled: 1-line block ×4, first 2 shown]
.LBB0_11:
	s_or_b32 exec_lo, exec_lo, s0
	v_add_nc_u32_e32 v119, 0x330, v110
	s_waitcnt lgkmcnt(0)
	s_barrier
	buffer_gl0_inv
	s_and_saveexec_b32 s0, vcc_lo
	s_cbranch_execz .LBB0_13
; %bb.12:
	v_sub_f32_e32 v126, v68, v2
	v_add_f32_e32 v151, v3, v69
	v_sub_f32_e32 v123, v70, v0
	v_add_f32_e32 v150, v1, v71
	v_sub_f32_e32 v121, v56, v54
	v_mul_f32_e32 v93, 0xbf06c442, v126
	v_add_f32_e32 v149, v55, v57
	v_mul_f32_e32 v94, 0x3f65296c, v123
	v_sub_f32_e32 v122, v58, v73
	v_mul_f32_e32 v95, 0xbf7ee86f, v121
	v_fmamk_f32 v89, v151, 0xbf59a7d5, v93
	v_add_f32_e32 v146, v74, v59
	v_fmamk_f32 v90, v150, 0x3ee437d1, v94
	v_sub_f32_e32 v124, v60, v75
	v_mul_f32_e32 v96, 0x3f4c4adb, v122
	v_add_f32_e32 v89, v88, v89
	v_fmamk_f32 v91, v149, 0x3dbcf732, v95
	v_sub_f32_e32 v139, v69, v3
	v_add_f32_e32 v147, v76, v61
	v_sub_f32_e32 v125, v62, v52
	v_add_f32_e32 v89, v90, v89
	v_mul_f32_e32 v97, 0xbeb8f4ab, v124
	v_fmamk_f32 v90, v146, 0xbf1a4643, v96
	v_add_f32_e32 v128, v2, v68
	v_mul_f32_e32 v99, 0xbf06c442, v139
	v_add_f32_e32 v89, v91, v89
	v_sub_f32_e32 v136, v71, v1
	v_add_f32_e32 v148, v53, v63
	v_sub_f32_e32 v120, v64, v50
	v_mul_f32_e32 v98, 0xbe3c28d5, v125
	v_fmamk_f32 v91, v147, 0x3f6eb680, v97
	v_add_f32_e32 v89, v90, v89
	v_add_f32_e32 v129, v0, v70
	v_fma_f32 v92, 0xbf59a7d5, v128, -v99
	v_mul_f32_e32 v100, 0x3f65296c, v136
	v_sub_f32_e32 v137, v57, v55
	v_fmamk_f32 v90, v148, 0xbf7ba420, v98
	v_add_f32_e32 v89, v91, v89
	v_mul_f32_e32 v101, 0x3f2c7751, v120
	v_add_f32_e32 v140, v51, v65
	v_add_f32_e32 v91, v87, v92
	v_fma_f32 v92, 0x3ee437d1, v129, -v100
	v_add_f32_e32 v130, v54, v56
	v_mul_f32_e32 v102, 0xbf7ee86f, v137
	v_sub_f32_e32 v138, v59, v74
	v_add_f32_e32 v89, v90, v89
	v_fmamk_f32 v90, v140, 0x3f3d2fb0, v101
	v_add_f32_e32 v91, v92, v91
	v_fma_f32 v92, 0x3dbcf732, v130, -v102
	v_add_f32_e32 v131, v73, v58
	v_mul_f32_e32 v103, 0x3f4c4adb, v138
	v_sub_f32_e32 v141, v61, v76
	v_sub_f32_e32 v127, v66, v48
	v_add_f32_e32 v89, v90, v89
	v_add_f32_e32 v90, v92, v91
	v_fma_f32 v91, 0xbf1a4643, v131, -v103
	v_add_f32_e32 v132, v75, v60
	v_mul_f32_e32 v104, 0xbeb8f4ab, v141
	v_mul_f32_e32 v152, 0xbf763a35, v127
	v_sub_f32_e32 v142, v63, v53
	v_add_f32_e32 v145, v49, v67
	v_add_f32_e32 v90, v91, v90
	v_fma_f32 v91, 0x3f6eb680, v132, -v104
	v_add_f32_e32 v133, v52, v62
	v_mul_f32_e32 v155, 0xbe3c28d5, v142
	v_fmamk_f32 v92, v145, 0xbe8c1d8e, v152
	v_sub_f32_e32 v143, v65, v51
	v_add_f32_e32 v91, v91, v90
	v_add_f32_e32 v134, v50, v64
	v_fma_f32 v135, 0xbf7ba420, v133, -v155
	v_add_f32_e32 v90, v92, v89
	v_mul_f32_e32 v92, 0xbe3c28d5, v126
	v_mul_f32_e32 v156, 0x3f2c7751, v143
	v_sub_f32_e32 v144, v67, v49
	v_add_f32_e32 v89, v135, v91
	v_mul_f32_e32 v153, 0x3eb8f4ab, v123
	v_fmamk_f32 v91, v151, 0xbf7ba420, v92
	v_fma_f32 v154, 0x3f3d2fb0, v134, -v156
	v_add_f32_e32 v135, v48, v66
	v_mul_f32_e32 v157, 0xbf763a35, v144
	v_fmamk_f32 v158, v150, 0x3f6eb680, v153
	v_add_f32_e32 v91, v88, v91
	v_mul_f32_e32 v159, 0xbf06c442, v121
	v_add_f32_e32 v89, v154, v89
	v_fma_f32 v154, 0xbe8c1d8e, v135, -v157
	v_mul_f32_e32 v160, 0xbe3c28d5, v139
	v_add_f32_e32 v91, v158, v91
	v_fmamk_f32 v158, v149, 0xbf59a7d5, v159
	v_mul_f32_e32 v161, 0x3f2c7751, v122
	v_add_f32_e32 v89, v154, v89
	v_fma_f32 v154, 0xbf7ba420, v128, -v160
	v_mul_f32_e32 v162, 0x3eb8f4ab, v136
	v_add_f32_e32 v91, v158, v91
	v_fmamk_f32 v158, v146, 0x3f3d2fb0, v161
	;; [unrolled: 6-line block ×5, first 2 shown]
	v_mul_f32_e32 v170, 0x3f7ee86f, v127
	v_add_f32_e32 v154, v164, v154
	v_fma_f32 v164, 0xbf1a4643, v132, -v169
	v_mul_f32_e32 v171, 0x3f65296c, v142
	v_fma_f32 v92, 0xbf7ba420, v151, -v92
	v_add_f32_e32 v91, v158, v91
	v_fmamk_f32 v158, v145, 0x3dbcf732, v170
	v_add_f32_e32 v154, v164, v154
	v_fma_f32 v164, 0x3ee437d1, v133, -v171
	v_add_f32_e32 v172, v88, v92
	v_fmac_f32_e32 v160, 0xbf7ba420, v128
	v_add_f32_e32 v92, v158, v91
	v_mul_f32_e32 v158, 0xbf763a35, v143
	v_add_f32_e32 v91, v164, v154
	v_fma_f32 v154, 0xbf59a7d5, v149, -v159
	v_mul_f32_e32 v164, 0x3f7ee86f, v144
	v_add_f32_e32 v160, v87, v160
	v_fma_f32 v159, 0xbe8c1d8e, v134, -v158
	v_fmac_f32_e32 v162, 0x3f6eb680, v129
	v_fma_f32 v153, 0x3f6eb680, v150, -v153
	v_fmac_f32_e32 v165, 0xbf59a7d5, v130
	v_fma_f32 v93, 0xbf59a7d5, v151, -v93
	v_add_f32_e32 v91, v159, v91
	v_fma_f32 v159, 0x3dbcf732, v135, -v164
	v_add_f32_e32 v160, v162, v160
	v_add_f32_e32 v153, v153, v172
	v_fmac_f32_e32 v167, 0x3f3d2fb0, v131
	v_add_f32_e32 v93, v88, v93
	v_add_f32_e32 v91, v159, v91
	v_add_f32_e32 v159, v165, v160
	v_add_f32_e32 v153, v154, v153
	v_fma_f32 v154, 0x3f3d2fb0, v146, -v161
	v_fma_f32 v94, 0x3ee437d1, v150, -v94
	v_fmac_f32_e32 v169, 0xbf1a4643, v132
	v_add_f32_e32 v159, v167, v159
	v_fmac_f32_e32 v171, 0x3ee437d1, v133
	v_add_f32_e32 v153, v154, v153
	v_fma_f32 v154, 0xbf1a4643, v147, -v163
	v_add_f32_e32 v93, v94, v93
	v_fma_f32 v94, 0x3dbcf732, v149, -v95
	;; [unrolled: 2-line block ×4, first 2 shown]
	v_add_f32_e32 v93, v94, v93
	v_add_f32_e32 v95, v171, v95
	v_fmac_f32_e32 v158, 0xbe8c1d8e, v134
	v_fmac_f32_e32 v99, 0xbf59a7d5, v128
	v_add_f32_e32 v153, v154, v153
	v_fma_f32 v154, 0xbe8c1d8e, v140, -v168
	v_add_f32_e32 v93, v96, v93
	v_fma_f32 v96, 0x3f6eb680, v147, -v97
	v_add_f32_e32 v95, v158, v95
	v_add_f32_e32 v97, v87, v99
	v_fmac_f32_e32 v100, 0x3ee437d1, v129
	v_fmac_f32_e32 v164, 0x3dbcf732, v135
	v_mul_f32_e32 v166, 0xbf1a4643, v151
	v_add_f32_e32 v153, v154, v153
	v_fma_f32 v154, 0x3dbcf732, v145, -v170
	v_add_f32_e32 v96, v96, v93
	v_fma_f32 v98, 0xbf7ba420, v148, -v98
	v_add_f32_e32 v97, v100, v97
	v_fmac_f32_e32 v102, 0x3dbcf732, v130
	v_add_f32_e32 v93, v164, v95
	v_fmamk_f32 v95, v126, 0x3f4c4adb, v166
	v_mul_f32_e32 v167, 0xbe8c1d8e, v150
	v_add_f32_e32 v94, v154, v153
	v_add_f32_e32 v96, v98, v96
	;; [unrolled: 1-line block ×3, first 2 shown]
	v_fmac_f32_e32 v103, 0xbf1a4643, v131
	v_add_f32_e32 v95, v88, v95
	v_fmamk_f32 v98, v123, 0xbf763a35, v167
	v_mul_f32_e32 v153, 0x3f6eb680, v149
	v_fmac_f32_e32 v104, 0x3f6eb680, v132
	v_add_f32_e32 v97, v103, v97
	v_mul_f32_e32 v154, 0xbf59a7d5, v146
	v_add_f32_e32 v95, v98, v95
	v_fmamk_f32 v98, v121, 0x3eb8f4ab, v153
	v_fma_f32 v99, 0x3f3d2fb0, v140, -v101
	v_add_f32_e32 v97, v104, v97
	v_fmac_f32_e32 v155, 0xbf7ba420, v133
	v_mul_f32_e32 v158, 0x3dbcf732, v147
	v_add_f32_e32 v95, v98, v95
	v_fmamk_f32 v98, v122, 0x3f06c442, v154
	v_add_f32_e32 v96, v99, v96
	v_fma_f32 v99, 0xbe8c1d8e, v145, -v152
	v_add_f32_e32 v97, v155, v97
	v_fmac_f32_e32 v156, 0x3f3d2fb0, v134
	v_add_f32_e32 v95, v98, v95
	v_fmamk_f32 v98, v124, 0xbf7ee86f, v158
	v_mul_f32_e32 v159, 0x3f3d2fb0, v148
	v_mul_f32_e32 v171, 0xbf4c4adb, v139
	v_add_f32_e32 v96, v99, v96
	v_add_f32_e32 v97, v156, v97
	;; [unrolled: 1-line block ×3, first 2 shown]
	v_fmamk_f32 v98, v125, 0x3f2c7751, v159
	v_fmac_f32_e32 v157, 0xbe8c1d8e, v135
	v_fmamk_f32 v99, v128, 0xbf1a4643, v171
	v_mul_f32_e32 v172, 0x3f763a35, v136
	v_mul_f32_e32 v174, 0xbeb8f4ab, v137
	v_add_f32_e32 v98, v98, v95
	v_add_f32_e32 v95, v157, v97
	v_add_f32_e32 v97, v87, v99
	v_fmamk_f32 v99, v129, 0xbe8c1d8e, v172
	v_mul_f32_e32 v169, 0xbe8c1d8e, v151
	v_mul_f32_e32 v185, 0xbf06c442, v138
	;; [unrolled: 1-line block ×4, first 2 shown]
	v_add_f32_e32 v97, v99, v97
	v_fmamk_f32 v99, v130, 0x3f6eb680, v174
	v_fmamk_f32 v101, v126, 0x3f763a35, v169
	v_mul_f32_e32 v186, 0x3f7ee86f, v141
	v_fmamk_f32 v102, v123, 0xbf06c442, v163
	v_mul_f32_e32 v164, 0x3f3d2fb0, v149
	v_add_f32_e32 v97, v99, v97
	v_fmamk_f32 v99, v131, 0xbf59a7d5, v185
	v_add_f32_e32 v101, v88, v101
	v_fmamk_f32 v100, v120, 0x3e3c28d5, v160
	v_mul_f32_e32 v162, 0x3ee437d1, v145
	v_mul_f32_e32 v183, 0xbf2c7751, v142
	v_add_f32_e32 v97, v99, v97
	v_fmamk_f32 v99, v132, 0x3dbcf732, v186
	v_add_f32_e32 v101, v102, v101
	v_fmamk_f32 v102, v121, 0xbf2c7751, v164
	v_mul_f32_e32 v155, 0x3ee437d1, v146
	v_add_f32_e32 v98, v100, v98
	v_fmamk_f32 v100, v127, 0xbf65296c, v162
	v_add_f32_e32 v97, v99, v97
	v_fmamk_f32 v99, v133, 0x3f3d2fb0, v183
	v_mul_f32_e32 v168, 0xbe3c28d5, v143
	v_add_f32_e32 v101, v102, v101
	v_fmamk_f32 v102, v122, 0x3f65296c, v155
	v_mul_f32_e32 v156, 0xbf7ba420, v147
	v_add_f32_e32 v97, v99, v97
	v_fmamk_f32 v99, v134, 0xbf7ba420, v168
	v_add_f32_e32 v98, v100, v98
	v_add_f32_e32 v100, v102, v101
	v_fmamk_f32 v101, v124, 0x3e3c28d5, v156
	v_mul_f32_e32 v157, 0x3dbcf732, v148
	v_mul_f32_e32 v173, 0x3f65296c, v144
	v_mul_f32_e32 v187, 0xbf763a35, v139
	v_add_f32_e32 v97, v99, v97
	v_add_f32_e32 v99, v101, v100
	v_fmamk_f32 v100, v125, 0xbf7ee86f, v157
	v_mul_f32_e32 v161, 0x3f6eb680, v140
	v_fmamk_f32 v101, v135, 0x3ee437d1, v173
	v_fmamk_f32 v102, v128, 0xbe8c1d8e, v187
	v_mul_f32_e32 v188, 0x3f06c442, v136
	v_add_f32_e32 v99, v100, v99
	v_fmamk_f32 v100, v120, 0x3eb8f4ab, v161
	v_add_f32_e32 v97, v101, v97
	v_add_f32_e32 v101, v87, v102
	v_fmamk_f32 v102, v129, 0xbf59a7d5, v188
	v_mul_f32_e32 v189, 0x3f2c7751, v137
	v_mul_f32_e32 v190, 0x3dbcf732, v151
	v_add_f32_e32 v99, v100, v99
	v_mul_f32_e32 v191, 0xbf65296c, v138
	v_add_f32_e32 v100, v102, v101
	v_fmamk_f32 v101, v130, 0x3f3d2fb0, v189
	v_fmamk_f32 v103, v126, 0x3f7ee86f, v190
	v_mul_f32_e32 v192, 0xbf7ba420, v150
	v_mul_f32_e32 v193, 0xbe3c28d5, v141
	;; [unrolled: 1-line block ×3, first 2 shown]
	v_add_f32_e32 v100, v101, v100
	v_fmamk_f32 v101, v131, 0x3ee437d1, v191
	v_add_f32_e32 v103, v88, v103
	v_fmamk_f32 v104, v123, 0x3e3c28d5, v192
	v_mul_f32_e32 v152, 0xbf1a4643, v145
	v_mul_f32_e32 v195, 0x3f7ee86f, v142
	v_add_f32_e32 v100, v101, v100
	v_fmamk_f32 v101, v132, 0xbf7ba420, v193
	v_add_f32_e32 v103, v104, v103
	v_fmamk_f32 v104, v121, 0xbf763a35, v194
	v_mul_f32_e32 v178, 0x3f6eb680, v146
	v_fmamk_f32 v102, v127, 0x3f4c4adb, v152
	v_add_f32_e32 v100, v101, v100
	v_fmamk_f32 v101, v133, 0x3dbcf732, v195
	v_mul_f32_e32 v179, 0xbeb8f4ab, v143
	v_add_f32_e32 v103, v104, v103
	v_fmamk_f32 v104, v122, 0xbeb8f4ab, v178
	v_mul_f32_e32 v180, 0x3ee437d1, v147
	v_add_f32_e32 v101, v101, v100
	v_fmamk_f32 v165, v134, 0x3f6eb680, v179
	v_add_f32_e32 v100, v102, v99
	v_add_f32_e32 v99, v104, v103
	v_fmamk_f32 v102, v124, 0x3f65296c, v180
	v_mul_f32_e32 v181, 0xbf59a7d5, v148
	v_mul_f32_e32 v184, 0xbf4c4adb, v144
	;; [unrolled: 1-line block ×3, first 2 shown]
	v_add_f32_e32 v101, v165, v101
	v_add_f32_e32 v99, v102, v99
	v_fmamk_f32 v102, v125, 0x3f06c442, v181
	v_fmamk_f32 v103, v135, 0xbf1a4643, v184
	v_fmamk_f32 v104, v128, 0x3dbcf732, v196
	v_mul_f32_e32 v197, 0xbe3c28d5, v136
	v_mul_f32_e32 v198, 0x3f763a35, v137
	v_add_f32_e32 v102, v102, v99
	v_add_f32_e32 v99, v103, v101
	;; [unrolled: 1-line block ×3, first 2 shown]
	v_fmamk_f32 v103, v129, 0xbf7ba420, v197
	v_mul_f32_e32 v199, 0x3ee437d1, v151
	v_mul_f32_e32 v176, 0xbf1a4643, v140
	;; [unrolled: 1-line block ×4, first 2 shown]
	v_add_f32_e32 v101, v103, v101
	v_fmamk_f32 v103, v130, 0xbe8c1d8e, v198
	v_fmamk_f32 v170, v126, 0x3f65296c, v199
	;; [unrolled: 1-line block ×3, first 2 shown]
	v_mul_f32_e32 v202, 0xbf65296c, v141
	v_fmamk_f32 v175, v123, 0x3f4c4adb, v201
	v_add_f32_e32 v101, v103, v101
	v_fmamk_f32 v103, v131, 0x3f6eb680, v200
	v_add_f32_e32 v170, v88, v170
	v_mul_f32_e32 v203, 0xbf7ba420, v149
	v_add_f32_e32 v102, v165, v102
	v_mul_f32_e32 v165, 0x3f3d2fb0, v145
	v_add_f32_e32 v101, v103, v101
	v_fmamk_f32 v103, v132, 0x3ee437d1, v202
	v_mul_f32_e32 v204, 0xbf06c442, v142
	v_add_f32_e32 v170, v175, v170
	v_fmamk_f32 v175, v121, 0xbe3c28d5, v203
	v_mul_f32_e32 v205, 0xbe8c1d8e, v146
	v_fmamk_f32 v104, v127, 0xbf2c7751, v165
	v_add_f32_e32 v101, v103, v101
	v_fmamk_f32 v103, v133, 0xbf59a7d5, v204
	v_mul_f32_e32 v206, 0x3f4c4adb, v143
	v_add_f32_e32 v170, v175, v170
	v_fmamk_f32 v175, v122, 0xbf763a35, v205
	v_mul_f32_e32 v207, 0x3f3d2fb0, v147
	v_add_f32_e32 v101, v103, v101
	v_fmamk_f32 v103, v134, 0xbf1a4643, v206
	v_add_f32_e32 v102, v104, v102
	v_add_f32_e32 v104, v175, v170
	v_fmamk_f32 v170, v124, 0xbf2c7751, v207
	v_mul_f32_e32 v182, 0x3f6eb680, v148
	v_mul_f32_e32 v209, 0xbf65296c, v139
	v_add_f32_e32 v101, v103, v101
	v_mul_f32_e32 v210, 0x3dbcf732, v140
	v_add_f32_e32 v103, v170, v104
	v_fmamk_f32 v104, v125, 0x3eb8f4ab, v182
	v_fmamk_f32 v175, v128, 0x3ee437d1, v209
	v_mul_f32_e32 v211, 0xbf4c4adb, v136
	v_mul_f32_e32 v212, 0x3e3c28d5, v137
	;; [unrolled: 1-line block ×3, first 2 shown]
	v_add_f32_e32 v103, v104, v103
	v_fmamk_f32 v104, v120, 0x3f7ee86f, v210
	v_add_f32_e32 v175, v87, v175
	v_fmamk_f32 v177, v129, 0xbf1a4643, v211
	v_mul_f32_e32 v214, 0x3f763a35, v138
	v_mul_f32_e32 v208, 0x3f2c7751, v144
	v_add_f32_e32 v103, v104, v103
	v_fmamk_f32 v215, v126, 0x3f2c7751, v213
	v_add_f32_e32 v104, v177, v175
	v_fmamk_f32 v175, v130, 0xbf7ba420, v212
	v_mul_f32_e32 v216, 0x3dbcf732, v150
	v_mul_f32_e32 v217, 0x3f2c7751, v141
	v_fmamk_f32 v170, v135, 0x3f3d2fb0, v208
	v_add_f32_e32 v215, v88, v215
	v_add_f32_e32 v104, v175, v104
	v_fmamk_f32 v175, v131, 0xbe8c1d8e, v214
	v_fmamk_f32 v218, v123, 0x3f7ee86f, v216
	v_mul_f32_e32 v219, 0xbf1a4643, v149
	v_mul_f32_e32 v220, 0xbeb8f4ab, v142
	v_add_f32_e32 v101, v170, v101
	v_add_f32_e32 v104, v175, v104
	v_fmamk_f32 v175, v132, 0x3f3d2fb0, v217
	v_mul_f32_e32 v170, 0xbf59a7d5, v145
	v_add_f32_e32 v215, v218, v215
	v_fmamk_f32 v218, v121, 0x3f4c4adb, v219
	v_mul_f32_e32 v221, 0xbf7ba420, v146
	v_add_f32_e32 v104, v175, v104
	v_fmamk_f32 v175, v133, 0x3f6eb680, v220
	v_mul_f32_e32 v222, 0xbf7ee86f, v143
	v_fmamk_f32 v177, v127, 0x3f06c442, v170
	v_add_f32_e32 v215, v218, v215
	v_fmamk_f32 v218, v122, 0x3e3c28d5, v221
	v_mul_f32_e32 v223, 0xbf59a7d5, v147
	v_add_f32_e32 v175, v175, v104
	v_fmamk_f32 v224, v134, 0x3dbcf732, v222
	v_add_f32_e32 v104, v177, v103
	v_add_f32_e32 v103, v218, v215
	v_fmamk_f32 v215, v124, 0xbf06c442, v223
	v_mul_f32_e32 v177, 0xbe8c1d8e, v148
	v_add_f32_e32 v218, v224, v175
	v_mul_f32_e32 v224, 0xbf2c7751, v139
	v_mul_f32_e32 v225, 0xbf06c442, v144
	v_add_f32_e32 v103, v215, v103
	v_fmamk_f32 v215, v125, 0xbf763a35, v177
	v_mul_f32_e32 v227, 0xbf7ee86f, v136
	v_fmamk_f32 v226, v128, 0x3f3d2fb0, v224
	v_fmamk_f32 v228, v135, 0xbf59a7d5, v225
	v_mul_f32_e32 v175, 0x3ee437d1, v140
	v_add_f32_e32 v215, v215, v103
	v_fmamk_f32 v230, v129, 0x3dbcf732, v227
	v_add_f32_e32 v226, v87, v226
	v_add_f32_e32 v103, v228, v218
	v_mul_f32_e32 v218, 0x3f6eb680, v151
	v_add_f32_e32 v69, v69, v88
	v_fmamk_f32 v229, v120, 0xbf65296c, v175
	v_mul_f32_e32 v231, 0xbf4c4adb, v137
	v_add_f32_e32 v226, v230, v226
	v_fmamk_f32 v230, v126, 0x3eb8f4ab, v218
	v_mul_f32_e32 v150, 0x3f3d2fb0, v150
	v_add_f32_e32 v69, v71, v69
	v_add_f32_e32 v68, v68, v87
	;; [unrolled: 1-line block ×3, first 2 shown]
	v_fmamk_f32 v228, v130, 0xbf1a4643, v231
	v_mul_f32_e32 v229, 0xbe3c28d5, v138
	v_add_f32_e32 v230, v88, v230
	v_fmamk_f32 v233, v123, 0x3f2c7751, v150
	v_mul_f32_e32 v149, 0x3ee437d1, v149
	v_add_f32_e32 v57, v57, v69
	v_add_f32_e32 v68, v70, v68
	;; [unrolled: 1-line block ×3, first 2 shown]
	v_fmamk_f32 v228, v131, 0xbf7ba420, v229
	v_mul_f32_e32 v232, 0x3f06c442, v141
	v_add_f32_e32 v230, v233, v230
	v_fmamk_f32 v233, v121, 0x3f65296c, v149
	v_mul_f32_e32 v235, 0x3dbcf732, v146
	v_mul_f32_e32 v139, 0xbeb8f4ab, v139
	v_add_f32_e32 v57, v59, v57
	v_add_f32_e32 v56, v56, v68
	;; [unrolled: 1-line block ×3, first 2 shown]
	v_fmamk_f32 v228, v132, 0xbf59a7d5, v232
	v_mul_f32_e32 v234, 0x3f763a35, v142
	v_add_f32_e32 v230, v233, v230
	v_fmamk_f32 v233, v122, 0x3f7ee86f, v235
	v_mul_f32_e32 v236, 0xbe8c1d8e, v147
	v_fmamk_f32 v71, v128, 0x3f6eb680, v139
	v_mul_f32_e32 v136, 0xbf2c7751, v136
	v_add_f32_e32 v57, v61, v57
	v_add_f32_e32 v56, v58, v56
	v_mul_f32_e32 v151, 0x3f6eb680, v145
	v_add_f32_e32 v146, v228, v226
	v_fmamk_f32 v226, v133, 0xbe8c1d8e, v234
	v_mul_f32_e32 v228, 0x3f65296c, v143
	v_add_f32_e32 v230, v233, v230
	v_fmamk_f32 v233, v124, 0x3f763a35, v236
	;; [unrolled: 3-line block ×3, first 2 shown]
	v_mul_f32_e32 v71, 0xbf65296c, v137
	v_add_f32_e32 v57, v63, v57
	v_add_f32_e32 v56, v60, v56
	;; [unrolled: 1-line block ×3, first 2 shown]
	v_fmamk_f32 v147, v134, 0x3ee437d1, v228
	v_fmamk_f32 v237, v127, 0xbeb8f4ab, v151
	v_add_f32_e32 v230, v233, v230
	v_fmamk_f32 v233, v125, 0x3f4c4adb, v148
	v_mul_f32_e32 v140, 0xbf59a7d5, v140
	v_add_f32_e32 v68, v70, v69
	v_fmamk_f32 v69, v130, 0x3ee437d1, v71
	v_mul_f32_e32 v58, 0xbf7ee86f, v138
	v_add_f32_e32 v57, v65, v57
	v_add_f32_e32 v56, v62, v56
	;; [unrolled: 1-line block ×5, first 2 shown]
	v_fmamk_f32 v59, v120, 0x3f06c442, v140
	v_add_f32_e32 v61, v69, v68
	v_fmamk_f32 v60, v131, 0x3dbcf732, v58
	v_mul_f32_e32 v63, 0xbf763a35, v141
	v_mul_f32_e32 v68, 0xbf7ba420, v145
	v_add_f32_e32 v57, v67, v57
	v_add_f32_e32 v56, v64, v56
	;; [unrolled: 1-line block ×4, first 2 shown]
	v_fmamk_f32 v61, v132, 0xbe8c1d8e, v63
	v_mul_f32_e32 v62, 0xbf4c4adb, v142
	v_fmamk_f32 v64, v127, 0x3e3c28d5, v68
	v_add_f32_e32 v57, v49, v57
	v_add_f32_e32 v56, v66, v56
	;; [unrolled: 1-line block ×3, first 2 shown]
	v_fmamk_f32 v61, v133, 0xbf1a4643, v62
	v_add_f32_e32 v49, v64, v59
	v_mul_f32_e32 v59, 0xbf06c442, v143
	v_add_f32_e32 v51, v51, v57
	v_add_f32_e32 v48, v48, v56
	v_fmac_f32_e32 v166, 0xbf4c4adb, v126
	v_add_f32_e32 v60, v61, v60
	v_fmamk_f32 v56, v134, 0xbf59a7d5, v59
	v_mul_f32_e32 v57, 0xbe3c28d5, v144
	v_add_f32_e32 v51, v53, v51
	v_add_f32_e32 v48, v50, v48
	;; [unrolled: 1-line block ×3, first 2 shown]
	v_fmac_f32_e32 v167, 0x3f763a35, v123
	v_add_f32_e32 v53, v56, v60
	v_fmamk_f32 v56, v135, 0xbf7ba420, v57
	v_add_f32_e32 v51, v76, v51
	v_add_f32_e32 v52, v52, v48
	v_add_f32_e32 v50, v167, v50
	v_fmac_f32_e32 v153, 0xbeb8f4ab, v121
	v_add_f32_e32 v48, v56, v53
	v_fma_f32 v53, 0xbf1a4643, v128, -v171
	v_add_f32_e32 v51, v74, v51
	v_add_f32_e32 v52, v75, v52
	v_add_f32_e32 v50, v153, v50
	v_fmac_f32_e32 v154, 0xbf06c442, v122
	v_add_f32_e32 v53, v87, v53
	v_fma_f32 v56, 0xbe8c1d8e, v129, -v172
	;; [unrolled: 6-line block ×5, first 2 shown]
	v_add_f32_e32 v0, v2, v0
	v_fmac_f32_e32 v169, 0xbf763a35, v126
	v_add_f32_e32 v2, v160, v3
	v_fmac_f32_e32 v162, 0x3f65296c, v127
	v_add_f32_e32 v50, v51, v50
	v_fma_f32 v51, 0x3f3d2fb0, v133, -v183
	v_add_f32_e32 v52, v88, v169
	v_fmac_f32_e32 v163, 0x3f06c442, v123
	v_add_f32_e32 v3, v162, v2
	v_fma_f32 v2, 0xbe8c1d8e, v128, -v187
	v_add_f32_e32 v50, v51, v50
	v_fma_f32 v51, 0xbf7ba420, v134, -v168
	v_add_f32_e32 v52, v163, v52
	v_fmac_f32_e32 v164, 0x3f2c7751, v121
	v_add_f32_e32 v2, v87, v2
	v_fma_f32 v53, 0xbf59a7d5, v129, -v188
	;; [unrolled: 6-line block ×3, first 2 shown]
	v_fmac_f32_e32 v190, 0xbf7ee86f, v126
	v_add_f32_e32 v2, v51, v50
	v_add_f32_e32 v50, v155, v52
	v_fmac_f32_e32 v156, 0xbe3c28d5, v124
	v_add_f32_e32 v51, v54, v53
	v_add_f32_e32 v53, v88, v190
	v_fmac_f32_e32 v192, 0xbe3c28d5, v123
	v_fma_f32 v52, 0x3ee437d1, v131, -v191
	v_add_f32_e32 v50, v156, v50
	v_fmac_f32_e32 v157, 0x3f7ee86f, v125
	v_fmac_f32_e32 v194, 0x3f763a35, v121
	v_add_f32_e32 v53, v192, v53
	v_add_f32_e32 v51, v52, v51
	v_fma_f32 v52, 0xbf7ba420, v132, -v193
	v_add_f32_e32 v50, v157, v50
	v_fmac_f32_e32 v161, 0xbeb8f4ab, v120
	v_add_f32_e32 v53, v194, v53
	v_fmac_f32_e32 v178, 0x3eb8f4ab, v122
	v_fma_f32 v54, 0x3dbcf732, v128, -v196
	v_add_f32_e32 v51, v52, v51
	v_fma_f32 v52, 0x3dbcf732, v133, -v195
	v_add_f32_e32 v50, v161, v50
	v_fmac_f32_e32 v152, 0xbf4c4adb, v127
	v_add_f32_e32 v53, v178, v53
	v_fmac_f32_e32 v180, 0xbf65296c, v124
	v_add_f32_e32 v54, v87, v54
	v_fma_f32 v56, 0xbf7ba420, v129, -v197
	v_add_f32_e32 v52, v52, v51
	v_fma_f32 v55, 0x3f6eb680, v134, -v179
	v_add_f32_e32 v51, v152, v50
	v_add_f32_e32 v50, v180, v53
	v_fmac_f32_e32 v181, 0xbf06c442, v125
	v_add_f32_e32 v53, v56, v54
	v_fma_f32 v54, 0xbe8c1d8e, v130, -v198
	v_add_f32_e32 v52, v55, v52
	v_fma_f32 v55, 0xbf1a4643, v135, -v184
	v_add_f32_e32 v56, v181, v50
	v_fmac_f32_e32 v176, 0x3f4c4adb, v120
	v_add_f32_e32 v53, v54, v53
	v_fma_f32 v54, 0x3f6eb680, v131, -v200
	v_add_f32_e32 v50, v55, v52
	v_fma_f32 v60, 0xbf1a4643, v129, -v211
	;; [unrolled: 2-line block ×4, first 2 shown]
	v_fmac_f32_e32 v165, 0x3f2c7751, v127
	v_fma_f32 v61, 0xbf1a4643, v134, -v206
	v_add_f32_e32 v56, v87, v56
	v_fmac_f32_e32 v213, 0xbf2c7751, v126
	v_add_f32_e32 v53, v54, v53
	v_fma_f32 v54, 0xbf59a7d5, v133, -v204
	v_fmac_f32_e32 v216, 0xbf7ee86f, v123
	v_add_f32_e32 v56, v60, v56
	v_fma_f32 v60, 0xbf7ba420, v130, -v212
	v_fma_f32 v64, 0xbf59a7d5, v135, -v225
	v_add_f32_e32 v54, v54, v53
	v_add_f32_e32 v53, v165, v52
	v_fmac_f32_e32 v199, 0xbf65296c, v126
	v_fmac_f32_e32 v218, 0xbeb8f4ab, v126
	;; [unrolled: 1-line block ×3, first 2 shown]
	v_add_f32_e32 v52, v61, v54
	v_add_f32_e32 v54, v60, v56
	v_fma_f32 v56, 0xbe8c1d8e, v131, -v214
	v_fma_f32 v60, 0x3f3d2fb0, v135, -v208
	v_add_f32_e32 v61, v88, v213
	v_add_f32_e32 v55, v88, v199
	;; [unrolled: 1-line block ×4, first 2 shown]
	v_fma_f32 v56, 0x3f3d2fb0, v132, -v217
	v_add_f32_e32 v52, v60, v52
	v_add_f32_e32 v60, v216, v61
	v_fma_f32 v61, 0x3f3d2fb0, v128, -v224
	v_fmac_f32_e32 v150, 0xbf2c7751, v123
	v_add_f32_e32 v54, v56, v54
	v_fma_f32 v56, 0x3f6eb680, v133, -v220
	v_add_f32_e32 v55, v201, v55
	v_fmac_f32_e32 v203, 0x3e3c28d5, v121
	v_fmac_f32_e32 v219, 0xbf4c4adb, v121
	v_fma_f32 v66, 0xbf59a7d5, v132, -v232
	v_add_f32_e32 v54, v56, v54
	v_fma_f32 v56, 0x3dbcf732, v134, -v222
	v_add_f32_e32 v65, v150, v65
	v_fmac_f32_e32 v149, 0xbf65296c, v121
	v_add_f32_e32 v55, v203, v55
	v_fmac_f32_e32 v205, 0x3f763a35, v122
	v_add_f32_e32 v54, v56, v54
	v_add_f32_e32 v56, v87, v61
	v_fma_f32 v61, 0x3dbcf732, v129, -v227
	v_add_f32_e32 v60, v219, v60
	v_fmac_f32_e32 v221, 0xbe3c28d5, v122
	v_add_f32_e32 v54, v64, v54
	v_fma_f32 v64, 0x3f6eb680, v128, -v139
	v_add_f32_e32 v56, v61, v56
	v_fma_f32 v61, 0xbf1a4643, v130, -v231
	v_add_f32_e32 v65, v149, v65
	v_fmac_f32_e32 v235, 0xbf7ee86f, v122
	v_fma_f32 v58, 0x3dbcf732, v131, -v58
	v_add_f32_e32 v55, v205, v55
	v_add_f32_e32 v56, v61, v56
	v_fma_f32 v61, 0xbf7ba420, v131, -v229
	v_fmac_f32_e32 v207, 0x3f2c7751, v124
	v_add_f32_e32 v60, v221, v60
	v_fmac_f32_e32 v223, 0x3f06c442, v124
	v_fmac_f32_e32 v236, 0xbf763a35, v124
	v_add_f32_e32 v56, v61, v56
	v_add_f32_e32 v61, v87, v64
	v_fma_f32 v64, 0x3f3d2fb0, v129, -v136
	v_add_f32_e32 v55, v207, v55
	v_fmac_f32_e32 v182, 0xbeb8f4ab, v125
	v_add_f32_e32 v56, v66, v56
	v_fma_f32 v66, 0xbe8c1d8e, v133, -v234
	v_add_f32_e32 v61, v64, v61
	v_fma_f32 v64, 0x3ee437d1, v130, -v71
	v_add_f32_e32 v60, v223, v60
	v_fmac_f32_e32 v177, 0x3f763a35, v125
	v_add_f32_e32 v56, v66, v56
	v_fmac_f32_e32 v148, 0xbf4c4adb, v125
	v_add_f32_e32 v61, v64, v61
	v_add_f32_e32 v64, v235, v65
	v_mul_f32_e32 v226, 0x3eb8f4ab, v144
	v_add_f32_e32 v55, v182, v55
	v_fmac_f32_e32 v210, 0xbf7ee86f, v120
	v_add_f32_e32 v58, v58, v61
	v_fma_f32 v61, 0xbe8c1d8e, v132, -v63
	v_fma_f32 v63, 0x3ee437d1, v134, -v228
	v_add_f32_e32 v64, v236, v64
	v_add_f32_e32 v60, v177, v60
	v_fmac_f32_e32 v175, 0x3f65296c, v120
	v_add_f32_e32 v58, v61, v58
	v_fma_f32 v61, 0xbf1a4643, v133, -v62
	v_add_f32_e32 v56, v63, v56
	v_mul_lo_u16 v63, v107, 17
	v_add_f32_e32 v62, v148, v64
	v_fmac_f32_e32 v140, 0xbf06c442, v120
	v_add_f32_e32 v58, v61, v58
	v_fma_f32 v59, 0xbf59a7d5, v134, -v59
	v_and_b32_e32 v63, 0xffff, v63
	v_fmamk_f32 v238, v135, 0x3f6eb680, v226
	v_add_f32_e32 v55, v210, v55
	v_fmac_f32_e32 v170, 0xbf06c442, v127
	v_add_f32_e32 v60, v175, v60
	v_fmac_f32_e32 v151, 0x3eb8f4ab, v127
	v_fma_f32 v61, 0x3f6eb680, v135, -v226
	v_add_f32_e32 v62, v140, v62
	v_fmac_f32_e32 v68, 0xbe3c28d5, v127
	v_add_f32_e32 v58, v59, v58
	v_fma_f32 v64, 0xbf7ba420, v135, -v57
	v_lshl_add_u32 v63, v63, 3, v108
	v_add_f32_e32 v146, v238, v146
	v_add_f32_e32 v55, v170, v55
	;; [unrolled: 1-line block ×6, first 2 shown]
	ds_write2_b64 v63, v[0:1], v[48:49] offset1:1
	ds_write2_b64 v63, v[146:147], v[103:104] offset0:2 offset1:3
	ds_write2_b64 v63, v[101:102], v[99:100] offset0:4 offset1:5
	;; [unrolled: 1-line block ×7, first 2 shown]
	ds_write_b64 v63, v[58:59] offset:128
.LBB0_13:
	s_or_b32 exec_lo, exec_lo, s0
	v_add_nc_u32_e32 v68, 0x800, v109
	v_add_nc_u32_e32 v69, 0x1800, v109
	s_waitcnt lgkmcnt(0)
	s_barrier
	buffer_gl0_inv
	ds_read2_b64 v[0:3], v68 offset0:152 offset1:254
	ds_read2_b64 v[48:51], v69 offset0:48 offset1:150
	v_add_nc_u32_e32 v70, 0x1000, v109
	v_add_nc_u32_e32 v71, 0x1c00, v109
	;; [unrolled: 1-line block ×3, first 2 shown]
	ds_read2_b64 v[52:55], v70 offset0:100 offset1:202
	ds_read2_b64 v[56:59], v109 offset1:102
	ds_read2_b64 v[60:63], v71 offset0:124 offset1:226
	ds_read2_b64 v[64:67], v73 offset0:76 offset1:178
	s_waitcnt lgkmcnt(0)
	s_barrier
	buffer_gl0_inv
	v_mul_f32_e32 v74, v13, v1
	v_mul_f32_e32 v13, v13, v0
	;; [unrolled: 1-line block ×8, first 2 shown]
	v_fmac_f32_e32 v74, v12, v0
	v_fma_f32 v1, v12, v1, -v13
	v_fmac_f32_e32 v75, v14, v48
	v_fma_f32 v12, v14, v49, -v15
	;; [unrolled: 2-line block ×3, first 2 shown]
	v_fmac_f32_e32 v87, v18, v50
	v_mul_f32_e32 v0, v11, v60
	v_mul_f32_e32 v16, v5, v55
	;; [unrolled: 1-line block ×5, first 2 shown]
	v_fma_f32 v14, v18, v51, -v19
	v_mul_f32_e32 v15, v11, v61
	v_fma_f32 v17, v10, v61, -v0
	v_mul_f32_e32 v18, v7, v63
	v_fmac_f32_e32 v16, v4, v54
	v_mul_f32_e32 v0, v7, v62
	v_fma_f32 v19, v4, v55, -v2
	v_add_f32_e32 v2, v74, v75
	v_add_f32_e32 v3, v56, v74
	;; [unrolled: 1-line block ×4, first 2 shown]
	v_fmac_f32_e32 v88, v8, v52
	v_fma_f32 v11, v8, v53, -v9
	v_fmac_f32_e32 v15, v10, v60
	v_fmac_f32_e32 v18, v6, v62
	v_fma_f32 v48, v6, v63, -v0
	v_fma_f32 v0, -0.5, v2, v56
	v_sub_f32_e32 v5, v1, v12
	v_add_f32_e32 v2, v3, v75
	v_add_f32_e32 v3, v57, v1
	v_fma_f32 v1, -0.5, v4, v57
	v_sub_f32_e32 v6, v74, v75
	v_add_f32_e32 v8, v58, v76
	v_add_f32_e32 v9, v13, v14
	v_fma_f32 v58, -0.5, v7, v58
	v_sub_f32_e32 v7, v13, v14
	v_add_f32_e32 v10, v59, v13
	v_fmamk_f32 v4, v5, 0xbf5db3d7, v0
	v_fmac_f32_e32 v0, 0x3f5db3d7, v5
	v_add_f32_e32 v3, v3, v12
	v_fmamk_f32 v5, v6, 0x3f5db3d7, v1
	v_fmac_f32_e32 v1, 0xbf5db3d7, v6
	v_add_f32_e32 v6, v8, v87
	v_fmac_f32_e32 v59, -0.5, v9
	v_sub_f32_e32 v12, v76, v87
	v_fmamk_f32 v8, v7, 0xbf5db3d7, v58
	v_fmac_f32_e32 v58, 0x3f5db3d7, v7
	v_add_f32_e32 v7, v10, v14
	v_add_f32_e32 v10, v88, v15
	;; [unrolled: 1-line block ×3, first 2 shown]
	v_fmamk_f32 v9, v12, 0x3f5db3d7, v59
	v_fmac_f32_e32 v59, 0xbf5db3d7, v12
	v_add_f32_e32 v14, v11, v17
	v_fma_f32 v10, -0.5, v10, v64
	v_sub_f32_e32 v49, v11, v17
	v_add_f32_e32 v12, v13, v15
	v_add_f32_e32 v13, v65, v11
	v_fma_f32 v11, -0.5, v14, v65
	v_sub_f32_e32 v50, v88, v15
	v_fmamk_f32 v14, v49, 0xbf5db3d7, v10
	v_fmac_f32_e32 v10, 0x3f5db3d7, v49
	v_add_f32_e32 v13, v13, v17
	v_add_f32_e32 v17, v16, v18
	v_add_f32_e32 v49, v19, v48
	v_fmamk_f32 v15, v50, 0x3f5db3d7, v11
	v_fmac_f32_e32 v11, 0xbf5db3d7, v50
	v_add_f32_e32 v50, v66, v16
	v_fma_f32 v66, -0.5, v17, v66
	v_sub_f32_e32 v17, v19, v48
	v_add_f32_e32 v19, v67, v19
	v_fmac_f32_e32 v67, -0.5, v49
	v_sub_f32_e32 v49, v16, v18
	v_add_f32_e32 v16, v50, v18
	v_fmamk_f32 v18, v17, 0xbf5db3d7, v66
	v_fmac_f32_e32 v66, 0x3f5db3d7, v17
	v_add_f32_e32 v17, v19, v48
	v_fmamk_f32 v19, v49, 0x3f5db3d7, v67
	v_fmac_f32_e32 v67, 0xbf5db3d7, v49
	ds_write2_b64 v113, v[2:3], v[4:5] offset1:17
	ds_write_b64 v113, v[0:1] offset:272
	ds_write2_b64 v114, v[6:7], v[8:9] offset1:17
	ds_write_b64 v114, v[58:59] offset:272
	;; [unrolled: 2-line block ×4, first 2 shown]
	s_waitcnt lgkmcnt(0)
	s_barrier
	buffer_gl0_inv
	ds_read2_b64 v[0:3], v73 offset0:76 offset1:178
	ds_read2_b64 v[4:7], v70 offset0:100 offset1:202
	;; [unrolled: 1-line block ×5, first 2 shown]
	ds_read2_b64 v[48:51], v109 offset1:102
	s_waitcnt lgkmcnt(0)
	s_barrier
	buffer_gl0_inv
	v_mul_f32_e32 v52, v29, v3
	v_mul_f32_e32 v53, v82, v11
	;; [unrolled: 1-line block ×3, first 2 shown]
	v_fmac_f32_e32 v52, v28, v2
	v_mul_f32_e32 v2, v29, v2
	v_mul_f32_e32 v29, v31, v5
	v_mul_f32_e32 v31, v31, v4
	v_fmac_f32_e32 v53, v81, v10
	v_mul_f32_e32 v10, v25, v12
	v_fma_f32 v2, v28, v3, -v2
	v_fmac_f32_e32 v29, v30, v4
	v_fma_f32 v3, v30, v5, -v31
	v_fma_f32 v4, v81, v11, -v54
	v_mul_f32_e32 v5, v25, v13
	v_mul_f32_e32 v11, v27, v7
	;; [unrolled: 1-line block ×4, first 2 shown]
	v_fma_f32 v10, v24, v13, -v10
	v_fmac_f32_e32 v5, v24, v12
	v_fmac_f32_e32 v11, v26, v6
	v_fma_f32 v6, v26, v7, -v25
	v_fmac_f32_e32 v27, v79, v16
	v_mul_f32_e32 v7, v80, v16
	v_mul_f32_e32 v13, v21, v15
	;; [unrolled: 1-line block ×5, first 2 shown]
	v_fma_f32 v7, v79, v17, -v7
	v_fmac_f32_e32 v13, v20, v14
	v_fma_f32 v15, v20, v15, -v12
	v_fmac_f32_e32 v16, v22, v8
	v_fma_f32 v14, v22, v9, -v21
	v_sub_f32_e32 v9, v48, v29
	v_sub_f32_e32 v8, v52, v53
	v_mul_f32_e32 v17, v78, v19
	v_sub_f32_e32 v12, v49, v3
	v_sub_f32_e32 v20, v2, v4
	v_mul_f32_e32 v21, v78, v18
	v_fma_f32 v4, v48, 2.0, -v9
	v_fma_f32 v3, v52, 2.0, -v8
	;; [unrolled: 1-line block ×4, first 2 shown]
	v_fmac_f32_e32 v17, v77, v18
	v_fma_f32 v18, v77, v19, -v21
	v_sub_f32_e32 v19, v50, v11
	v_sub_f32_e32 v21, v5, v27
	;; [unrolled: 1-line block ×5, first 2 shown]
	v_fma_f32 v24, v50, 2.0, -v19
	v_sub_f32_e32 v25, v10, v7
	v_fma_f32 v5, v5, 2.0, -v21
	v_add_f32_e32 v6, v9, v20
	v_sub_f32_e32 v7, v12, v8
	v_fma_f32 v20, v51, 2.0, -v23
	v_fma_f32 v26, v10, 2.0, -v25
	v_sub_f32_e32 v8, v24, v5
	v_fma_f32 v5, v22, 2.0, -v3
	v_fma_f32 v10, v9, 2.0, -v6
	v_fma_f32 v11, v12, 2.0, -v7
	v_sub_f32_e32 v9, v20, v26
	v_fma_f32 v12, v24, 2.0, -v8
	v_sub_f32_e32 v22, v0, v16
	v_sub_f32_e32 v24, v1, v14
	v_sub_f32_e32 v26, v13, v17
	v_sub_f32_e32 v18, v15, v18
	v_add_f32_e32 v14, v19, v25
	v_fma_f32 v25, v0, 2.0, -v22
	v_fma_f32 v27, v1, 2.0, -v24
	;; [unrolled: 1-line block ×4, first 2 shown]
	v_sub_f32_e32 v15, v23, v21
	v_fma_f32 v0, v19, 2.0, -v14
	v_add_f32_e32 v18, v22, v18
	v_sub_f32_e32 v16, v25, v1
	v_sub_f32_e32 v17, v27, v17
	;; [unrolled: 1-line block ×3, first 2 shown]
	v_fma_f32 v4, v4, 2.0, -v2
	v_fma_f32 v13, v20, 2.0, -v9
	v_fma_f32 v1, v23, 2.0, -v15
	v_fma_f32 v20, v25, 2.0, -v16
	v_fma_f32 v21, v27, 2.0, -v17
	v_fma_f32 v22, v22, 2.0, -v18
	v_fma_f32 v23, v24, 2.0, -v19
	ds_write2_b64 v118, v[4:5], v[10:11] offset1:51
	ds_write2_b64 v118, v[2:3], v[6:7] offset0:102 offset1:153
	ds_write2_b64 v117, v[12:13], v[0:1] offset1:51
	ds_write2_b64 v117, v[8:9], v[14:15] offset0:102 offset1:153
	;; [unrolled: 2-line block ×3, first 2 shown]
	s_waitcnt lgkmcnt(0)
	s_barrier
	buffer_gl0_inv
	ds_read2_b64 v[0:3], v73 offset0:76 offset1:178
	ds_read2_b64 v[4:7], v68 offset0:152 offset1:254
	;; [unrolled: 1-line block ×5, first 2 shown]
	ds_read2_b64 v[20:23], v109 offset1:102
	s_waitcnt lgkmcnt(5)
	v_mul_f32_e32 v25, v41, v0
	v_mul_f32_e32 v24, v41, v1
	s_waitcnt lgkmcnt(4)
	v_mul_f32_e32 v26, v43, v5
	v_mul_f32_e32 v27, v45, v3
	s_waitcnt lgkmcnt(2)
	v_mul_f32_e32 v30, v39, v15
	v_fma_f32 v1, v40, v1, -v25
	v_mul_f32_e32 v25, v33, v9
	v_fmac_f32_e32 v24, v40, v0
	v_mul_f32_e32 v0, v43, v4
	v_fmac_f32_e32 v26, v42, v4
	;; [unrolled: 2-line block ×3, first 2 shown]
	v_mul_f32_e32 v8, v35, v12
	v_fma_f32 v0, v42, v5, -v0
	v_mul_f32_e32 v5, v35, v13
	v_fmac_f32_e32 v27, v44, v2
	v_fma_f32 v4, v32, v9, -v4
	v_fma_f32 v8, v34, v13, -v8
	v_mul_f32_e32 v13, v45, v2
	v_mul_f32_e32 v2, v47, v6
	v_fmac_f32_e32 v5, v34, v12
	s_waitcnt lgkmcnt(1)
	v_mul_f32_e32 v12, v86, v16
	v_mul_f32_e32 v9, v86, v17
	v_fmac_f32_e32 v30, v38, v14
	v_fma_f32 v29, v46, v7, -v2
	v_mul_f32_e32 v2, v39, v14
	v_fma_f32 v12, v85, v17, -v12
	v_fma_f32 v17, v44, v3, -v13
	v_mul_f32_e32 v3, v37, v10
	v_fmac_f32_e32 v9, v85, v16
	v_fma_f32 v14, v38, v15, -v2
	v_add_f32_e32 v2, v26, v5
	v_mul_f32_e32 v16, v47, v7
	v_mul_f32_e32 v28, v37, v11
	v_fma_f32 v31, v36, v11, -v3
	v_mul_f32_e32 v32, v84, v19
	v_mul_f32_e32 v3, v84, v18
	s_waitcnt lgkmcnt(0)
	v_fma_f32 v11, -0.5, v2, v20
	v_sub_f32_e32 v2, v0, v8
	v_fmac_f32_e32 v16, v46, v6
	v_fmac_f32_e32 v32, v83, v18
	v_add_f32_e32 v6, v20, v26
	v_fma_f32 v15, v83, v19, -v3
	v_add_f32_e32 v3, v0, v8
	v_fmamk_f32 v18, v2, 0xbf5db3d7, v11
	v_fmac_f32_e32 v11, 0x3f5db3d7, v2
	v_add_f32_e32 v2, v4, v12
	v_fmac_f32_e32 v28, v36, v10
	v_add_f32_e32 v10, v6, v5
	v_fma_f32 v13, -0.5, v3, v21
	v_sub_f32_e32 v3, v26, v5
	v_add_f32_e32 v5, v25, v9
	v_add_f32_e32 v6, v1, v4
	v_fmac_f32_e32 v1, -0.5, v2
	v_sub_f32_e32 v2, v25, v9
	v_add_f32_e32 v0, v21, v0
	v_fmamk_f32 v19, v3, 0x3f5db3d7, v13
	v_add_f32_e32 v7, v24, v25
	v_fmac_f32_e32 v24, -0.5, v5
	v_sub_f32_e32 v4, v4, v12
	v_fmac_f32_e32 v13, 0xbf5db3d7, v3
	v_fmamk_f32 v3, v2, 0x3f5db3d7, v1
	v_fmac_f32_e32 v1, 0xbf5db3d7, v2
	v_add_f32_e32 v0, v0, v8
	v_add_f32_e32 v8, v7, v9
	v_fmamk_f32 v5, v4, 0xbf5db3d7, v24
	v_fmac_f32_e32 v24, 0x3f5db3d7, v4
	v_mul_f32_e32 v9, 0xbf5db3d7, v3
	v_mul_f32_e32 v20, 0xbf5db3d7, v1
	v_mul_f32_e32 v1, -0.5, v1
	v_add_f32_e32 v21, v6, v12
	v_mul_f32_e32 v25, 0.5, v3
	v_fmac_f32_e32 v9, 0.5, v5
	v_fmac_f32_e32 v20, -0.5, v24
	v_fmac_f32_e32 v1, 0x3f5db3d7, v24
	v_add_f32_e32 v2, v10, v8
	v_sub_f32_e32 v8, v10, v8
	v_add_f32_e32 v4, v18, v9
	v_sub_f32_e32 v10, v18, v9
	v_add_f32_e32 v7, v13, v1
	v_add_f32_e32 v18, v22, v16
	v_sub_f32_e32 v13, v13, v1
	v_add_f32_e32 v1, v29, v14
	v_fmac_f32_e32 v25, 0x3f5db3d7, v5
	v_add_f32_e32 v6, v11, v20
	v_add_f32_e32 v3, v0, v21
	v_sub_f32_e32 v12, v11, v20
	v_sub_f32_e32 v9, v0, v21
	v_add_f32_e32 v0, v16, v30
	v_add_f32_e32 v20, v18, v30
	;; [unrolled: 1-line block ×3, first 2 shown]
	v_fmac_f32_e32 v23, -0.5, v1
	v_sub_f32_e32 v1, v16, v30
	v_add_f32_e32 v16, v31, v15
	v_add_f32_e32 v5, v19, v25
	v_sub_f32_e32 v11, v19, v25
	v_fma_f32 v0, -0.5, v0, v22
	v_sub_f32_e32 v19, v29, v14
	v_add_f32_e32 v25, v18, v14
	v_add_f32_e32 v14, v28, v32
	;; [unrolled: 1-line block ×3, first 2 shown]
	v_fmac_f32_e32 v17, -0.5, v16
	v_sub_f32_e32 v16, v28, v32
	v_fmamk_f32 v21, v19, 0xbf5db3d7, v0
	v_fmac_f32_e32 v0, 0x3f5db3d7, v19
	v_fmamk_f32 v26, v1, 0x3f5db3d7, v23
	v_add_f32_e32 v19, v27, v28
	v_fmac_f32_e32 v27, -0.5, v14
	v_sub_f32_e32 v14, v31, v15
	v_fmac_f32_e32 v23, 0xbf5db3d7, v1
	v_fmamk_f32 v1, v16, 0x3f5db3d7, v17
	v_fmac_f32_e32 v17, 0xbf5db3d7, v16
	v_add_f32_e32 v22, v19, v32
	v_fmamk_f32 v16, v14, 0xbf5db3d7, v27
	v_fmac_f32_e32 v27, 0x3f5db3d7, v14
	v_mul_f32_e32 v24, 0xbf5db3d7, v1
	v_mul_f32_e32 v28, 0xbf5db3d7, v17
	v_mul_f32_e32 v1, 0.5, v1
	v_mul_f32_e32 v30, -0.5, v17
	v_add_f32_e32 v29, v18, v15
	v_fmac_f32_e32 v24, 0.5, v16
	v_fmac_f32_e32 v28, -0.5, v27
	v_fmac_f32_e32 v1, 0x3f5db3d7, v16
	v_fmac_f32_e32 v30, 0x3f5db3d7, v27
	v_add_f32_e32 v14, v20, v22
	v_add_f32_e32 v16, v21, v24
	;; [unrolled: 1-line block ×5, first 2 shown]
	v_sub_f32_e32 v20, v20, v22
	v_sub_f32_e32 v24, v21, v24
	;; [unrolled: 1-line block ×5, first 2 shown]
	v_add_nc_u32_e32 v1, 0xc00, v110
	v_add_nc_u32_e32 v0, 0x1800, v110
	v_add_f32_e32 v19, v23, v30
	ds_write_b64 v115, v[2:3]
	v_add_nc_u32_e32 v2, 0x600, v119
	v_add_nc_u32_e32 v3, 0x1200, v119
	v_sub_f32_e32 v23, v23, v30
	ds_write2_b64 v1, v[6:7], v[8:9] offset0:24 offset1:228
	ds_write2_b64 v0, v[10:11], v[12:13] offset0:48 offset1:252
	;; [unrolled: 1-line block ×5, first 2 shown]
	ds_write_b64 v119, v[22:23] offset:8160
	s_waitcnt lgkmcnt(0)
	s_barrier
	buffer_gl0_inv
	s_and_b32 exec_lo, exec_lo, vcc_lo
	s_cbranch_execz .LBB0_15
; %bb.14:
	global_load_dwordx2 v[2:3], v106, s[12:13]
	ds_read_b64 v[4:5], v115
	s_mov_b32 s0, 0x1ac5701b
	s_mov_b32 s1, 0x3f4ac570
	v_mad_u64_u32 v[8:9], null, s4, v107, 0
	s_mul_i32 s2, s5, 0x240
	s_mul_i32 s3, s4, 0x240
	s_waitcnt vmcnt(0) lgkmcnt(0)
	v_mul_f32_e32 v6, v5, v3
	v_mul_f32_e32 v3, v4, v3
	v_fmac_f32_e32 v6, v4, v2
	v_fma_f32 v4, v2, v5, -v3
	v_cvt_f64_f32_e32 v[2:3], v6
	v_cvt_f64_f32_e32 v[4:5], v4
	v_mad_u64_u32 v[6:7], null, s6, v72, 0
	s_mul_hi_u32 s6, s4, 0x240
	s_add_i32 s2, s6, s2
	v_add_co_u32 v14, s6, s12, v106
	v_add_co_ci_u32_e64 v15, null, s13, 0, s6
	v_mad_u64_u32 v[10:11], null, s7, v72, v[7:8]
	v_mad_u64_u32 v[11:12], null, s5, v107, v[9:10]
	v_mov_b32_e32 v7, v10
	v_mul_f64 v[2:3], v[2:3], s[0:1]
	v_mul_f64 v[4:5], v[4:5], s[0:1]
	v_mov_b32_e32 v9, v11
	v_cvt_f32_f64_e32 v2, v[2:3]
	v_cvt_f32_f64_e32 v3, v[4:5]
	v_lshlrev_b64 v[4:5], 3, v[6:7]
	v_lshlrev_b64 v[6:7], 3, v[8:9]
	v_add_co_u32 v12, vcc_lo, s14, v4
	v_add_co_ci_u32_e32 v13, vcc_lo, s15, v5, vcc_lo
	v_add_co_u32 v6, vcc_lo, v12, v6
	v_add_co_ci_u32_e32 v7, vcc_lo, v13, v7, vcc_lo
	global_store_dwordx2 v[6:7], v[2:3], off
	global_load_dwordx2 v[8:9], v106, s[12:13] offset:576
	ds_read2_b64 v[2:5], v110 offset0:72 offset1:144
	v_add_co_u32 v6, vcc_lo, v6, s3
	v_add_co_ci_u32_e32 v7, vcc_lo, s2, v7, vcc_lo
	s_waitcnt vmcnt(0) lgkmcnt(0)
	v_mul_f32_e32 v10, v3, v9
	v_mul_f32_e32 v9, v2, v9
	v_fmac_f32_e32 v10, v2, v8
	v_fma_f32 v8, v8, v3, -v9
	v_cvt_f64_f32_e32 v[2:3], v10
	v_cvt_f64_f32_e32 v[8:9], v8
	v_mul_f64 v[2:3], v[2:3], s[0:1]
	v_mul_f64 v[8:9], v[8:9], s[0:1]
	v_cvt_f32_f64_e32 v2, v[2:3]
	v_cvt_f32_f64_e32 v3, v[8:9]
	global_store_dwordx2 v[6:7], v[2:3], off
	global_load_dwordx2 v[2:3], v106, s[12:13] offset:1152
	v_add_co_u32 v6, vcc_lo, v6, s3
	v_add_co_ci_u32_e32 v7, vcc_lo, s2, v7, vcc_lo
	s_waitcnt vmcnt(0)
	v_mul_f32_e32 v8, v5, v3
	v_mul_f32_e32 v3, v4, v3
	v_fmac_f32_e32 v8, v4, v2
	v_fma_f32 v4, v2, v5, -v3
	v_cvt_f64_f32_e32 v[2:3], v8
	v_cvt_f64_f32_e32 v[4:5], v4
	v_mul_f64 v[2:3], v[2:3], s[0:1]
	v_mul_f64 v[4:5], v[4:5], s[0:1]
	v_cvt_f32_f64_e32 v2, v[2:3]
	v_cvt_f32_f64_e32 v3, v[4:5]
	global_store_dwordx2 v[6:7], v[2:3], off
	global_load_dwordx2 v[8:9], v106, s[12:13] offset:1728
	v_add_nc_u32_e32 v2, 0x400, v110
	v_add_co_u32 v6, vcc_lo, v6, s3
	v_add_co_ci_u32_e32 v7, vcc_lo, s2, v7, vcc_lo
	ds_read2_b64 v[2:5], v2 offset0:88 offset1:160
	s_waitcnt vmcnt(0) lgkmcnt(0)
	v_mul_f32_e32 v10, v3, v9
	v_mul_f32_e32 v9, v2, v9
	v_fmac_f32_e32 v10, v2, v8
	v_fma_f32 v8, v8, v3, -v9
	v_cvt_f64_f32_e32 v[2:3], v10
	v_cvt_f64_f32_e32 v[8:9], v8
	v_mul_f64 v[2:3], v[2:3], s[0:1]
	v_mul_f64 v[8:9], v[8:9], s[0:1]
	v_cvt_f32_f64_e32 v2, v[2:3]
	v_cvt_f32_f64_e32 v3, v[8:9]
	v_add_co_u32 v8, vcc_lo, 0x800, v14
	v_add_co_ci_u32_e32 v9, vcc_lo, 0, v15, vcc_lo
	global_store_dwordx2 v[6:7], v[2:3], off
	global_load_dwordx2 v[2:3], v[8:9], off offset:256
	v_add_co_u32 v6, vcc_lo, v6, s3
	v_add_co_ci_u32_e32 v7, vcc_lo, s2, v7, vcc_lo
	s_waitcnt vmcnt(0)
	v_mul_f32_e32 v10, v5, v3
	v_mul_f32_e32 v3, v4, v3
	v_fmac_f32_e32 v10, v4, v2
	v_fma_f32 v4, v2, v5, -v3
	v_cvt_f64_f32_e32 v[2:3], v10
	v_cvt_f64_f32_e32 v[4:5], v4
	v_mul_f64 v[2:3], v[2:3], s[0:1]
	v_mul_f64 v[4:5], v[4:5], s[0:1]
	v_cvt_f32_f64_e32 v2, v[2:3]
	v_cvt_f32_f64_e32 v3, v[4:5]
	global_store_dwordx2 v[6:7], v[2:3], off
	global_load_dwordx2 v[10:11], v[8:9], off offset:832
	v_add_nc_u32_e32 v2, 0x800, v110
	v_add_co_u32 v6, vcc_lo, v6, s3
	v_add_co_ci_u32_e32 v7, vcc_lo, s2, v7, vcc_lo
	ds_read2_b64 v[2:5], v2 offset0:104 offset1:176
	s_waitcnt vmcnt(0) lgkmcnt(0)
	v_mul_f32_e32 v16, v3, v11
	v_mul_f32_e32 v11, v2, v11
	v_fmac_f32_e32 v16, v2, v10
	v_fma_f32 v10, v10, v3, -v11
	v_cvt_f64_f32_e32 v[2:3], v16
	v_cvt_f64_f32_e32 v[10:11], v10
	v_mul_f64 v[2:3], v[2:3], s[0:1]
	v_mul_f64 v[10:11], v[10:11], s[0:1]
	v_cvt_f32_f64_e32 v2, v[2:3]
	v_cvt_f32_f64_e32 v3, v[10:11]
	global_store_dwordx2 v[6:7], v[2:3], off
	global_load_dwordx2 v[2:3], v[8:9], off offset:1408
	s_waitcnt vmcnt(0)
	v_mul_f32_e32 v10, v5, v3
	v_mul_f32_e32 v3, v4, v3
	v_fmac_f32_e32 v10, v4, v2
	v_fma_f32 v4, v2, v5, -v3
	v_cvt_f64_f32_e32 v[2:3], v10
	v_cvt_f64_f32_e32 v[4:5], v4
	v_mul_f64 v[2:3], v[2:3], s[0:1]
	v_mul_f64 v[4:5], v[4:5], s[0:1]
	v_cvt_f32_f64_e32 v2, v[2:3]
	v_cvt_f32_f64_e32 v3, v[4:5]
	v_add_co_u32 v5, vcc_lo, v6, s3
	v_add_co_ci_u32_e32 v6, vcc_lo, s2, v7, vcc_lo
	global_store_dwordx2 v[5:6], v[2:3], off
	global_load_dwordx2 v[7:8], v[8:9], off offset:1984
	ds_read2_b64 v[1:4], v1 offset0:120 offset1:192
	v_add_co_u32 v5, vcc_lo, v5, s3
	v_add_co_ci_u32_e32 v6, vcc_lo, s2, v6, vcc_lo
	s_waitcnt vmcnt(0) lgkmcnt(0)
	v_mul_f32_e32 v9, v2, v8
	v_mul_f32_e32 v8, v1, v8
	v_fmac_f32_e32 v9, v1, v7
	v_fma_f32 v7, v7, v2, -v8
	v_cvt_f64_f32_e32 v[1:2], v9
	v_cvt_f64_f32_e32 v[7:8], v7
	v_mul_f64 v[1:2], v[1:2], s[0:1]
	v_mul_f64 v[7:8], v[7:8], s[0:1]
	v_cvt_f32_f64_e32 v1, v[1:2]
	v_cvt_f32_f64_e32 v2, v[7:8]
	v_add_co_u32 v7, vcc_lo, 0x1000, v14
	v_add_co_ci_u32_e32 v8, vcc_lo, 0, v15, vcc_lo
	global_store_dwordx2 v[5:6], v[1:2], off
	global_load_dwordx2 v[1:2], v[7:8], off offset:512
	v_add_co_u32 v5, vcc_lo, v5, s3
	v_add_co_ci_u32_e32 v6, vcc_lo, s2, v6, vcc_lo
	s_waitcnt vmcnt(0)
	v_mul_f32_e32 v9, v4, v2
	v_mul_f32_e32 v2, v3, v2
	v_fmac_f32_e32 v9, v3, v1
	v_fma_f32 v3, v1, v4, -v2
	v_cvt_f64_f32_e32 v[1:2], v9
	v_cvt_f64_f32_e32 v[3:4], v3
	v_mul_f64 v[1:2], v[1:2], s[0:1]
	v_mul_f64 v[3:4], v[3:4], s[0:1]
	v_cvt_f32_f64_e32 v1, v[1:2]
	v_cvt_f32_f64_e32 v2, v[3:4]
	global_store_dwordx2 v[5:6], v[1:2], off
	global_load_dwordx2 v[9:10], v[7:8], off offset:1088
	v_add_nc_u32_e32 v1, 0x1000, v110
	v_add_co_u32 v5, vcc_lo, v5, s3
	v_add_co_ci_u32_e32 v6, vcc_lo, s2, v6, vcc_lo
	ds_read2_b64 v[1:4], v1 offset0:136 offset1:208
	s_waitcnt vmcnt(0) lgkmcnt(0)
	v_mul_f32_e32 v11, v2, v10
	v_mul_f32_e32 v10, v1, v10
	v_fmac_f32_e32 v11, v1, v9
	v_fma_f32 v9, v9, v2, -v10
	v_cvt_f64_f32_e32 v[1:2], v11
	v_cvt_f64_f32_e32 v[9:10], v9
	v_mul_f64 v[1:2], v[1:2], s[0:1]
	v_mul_f64 v[9:10], v[9:10], s[0:1]
	v_cvt_f32_f64_e32 v1, v[1:2]
	v_cvt_f32_f64_e32 v2, v[9:10]
	global_store_dwordx2 v[5:6], v[1:2], off
	global_load_dwordx2 v[1:2], v[7:8], off offset:1664
	v_add_co_u32 v5, vcc_lo, v5, s3
	v_add_co_ci_u32_e32 v6, vcc_lo, s2, v6, vcc_lo
	s_waitcnt vmcnt(0)
	v_mul_f32_e32 v7, v4, v2
	v_mul_f32_e32 v2, v3, v2
	v_fmac_f32_e32 v7, v3, v1
	v_fma_f32 v3, v1, v4, -v2
	v_cvt_f64_f32_e32 v[1:2], v7
	v_cvt_f64_f32_e32 v[3:4], v3
	v_add_co_u32 v7, vcc_lo, 0x1800, v14
	v_add_co_ci_u32_e32 v8, vcc_lo, 0, v15, vcc_lo
	v_mul_f64 v[1:2], v[1:2], s[0:1]
	v_mul_f64 v[3:4], v[3:4], s[0:1]
	v_cvt_f32_f64_e32 v1, v[1:2]
	v_cvt_f32_f64_e32 v2, v[3:4]
	global_store_dwordx2 v[5:6], v[1:2], off
	global_load_dwordx2 v[9:10], v[7:8], off offset:192
	ds_read2_b64 v[1:4], v0 offset0:24 offset1:96
	v_add_co_u32 v5, vcc_lo, v5, s3
	v_add_co_ci_u32_e32 v6, vcc_lo, s2, v6, vcc_lo
	s_waitcnt vmcnt(0) lgkmcnt(0)
	v_mul_f32_e32 v11, v2, v10
	v_mul_f32_e32 v10, v1, v10
	v_fmac_f32_e32 v11, v1, v9
	v_fma_f32 v9, v9, v2, -v10
	v_cvt_f64_f32_e32 v[1:2], v11
	v_cvt_f64_f32_e32 v[9:10], v9
	v_mul_f64 v[1:2], v[1:2], s[0:1]
	v_mul_f64 v[9:10], v[9:10], s[0:1]
	v_cvt_f32_f64_e32 v1, v[1:2]
	v_cvt_f32_f64_e32 v2, v[9:10]
	global_store_dwordx2 v[5:6], v[1:2], off
	global_load_dwordx2 v[1:2], v[7:8], off offset:768
	s_waitcnt vmcnt(0)
	v_mul_f32_e32 v9, v4, v2
	v_mul_f32_e32 v2, v3, v2
	v_fmac_f32_e32 v9, v3, v1
	v_fma_f32 v3, v1, v4, -v2
	v_cvt_f64_f32_e32 v[1:2], v9
	v_cvt_f64_f32_e32 v[3:4], v3
	v_mul_f64 v[1:2], v[1:2], s[0:1]
	v_mul_f64 v[3:4], v[3:4], s[0:1]
	v_cvt_f32_f64_e32 v1, v[1:2]
	v_cvt_f32_f64_e32 v2, v[3:4]
	v_add_co_u32 v4, vcc_lo, v5, s3
	v_add_co_ci_u32_e32 v5, vcc_lo, s2, v6, vcc_lo
	global_store_dwordx2 v[4:5], v[1:2], off
	global_load_dwordx2 v[9:10], v[7:8], off offset:1344
	ds_read2_b64 v[0:3], v0 offset0:168 offset1:240
	v_add_co_u32 v4, vcc_lo, v4, s3
	v_add_co_ci_u32_e32 v5, vcc_lo, s2, v5, vcc_lo
	s_waitcnt vmcnt(0) lgkmcnt(0)
	v_mul_f32_e32 v6, v1, v10
	v_mul_f32_e32 v10, v0, v10
	v_fmac_f32_e32 v6, v0, v9
	v_fma_f32 v9, v9, v1, -v10
	v_cvt_f64_f32_e32 v[0:1], v6
	v_cvt_f64_f32_e32 v[9:10], v9
	v_mul_f64 v[0:1], v[0:1], s[0:1]
	v_mul_f64 v[9:10], v[9:10], s[0:1]
	v_cvt_f32_f64_e32 v0, v[0:1]
	v_cvt_f32_f64_e32 v1, v[9:10]
	global_store_dwordx2 v[4:5], v[0:1], off
	global_load_dwordx2 v[0:1], v[7:8], off offset:1920
	v_add_co_u32 v4, vcc_lo, v4, s3
	v_add_co_ci_u32_e32 v5, vcc_lo, s2, v5, vcc_lo
	s_waitcnt vmcnt(0)
	v_mul_f32_e32 v6, v3, v1
	v_mul_f32_e32 v1, v2, v1
	v_fmac_f32_e32 v6, v2, v0
	v_fma_f32 v2, v0, v3, -v1
	v_cvt_f64_f32_e32 v[0:1], v6
	v_cvt_f64_f32_e32 v[2:3], v2
	v_mul_f64 v[0:1], v[0:1], s[0:1]
	v_mul_f64 v[2:3], v[2:3], s[0:1]
	v_cvt_f32_f64_e32 v0, v[0:1]
	v_cvt_f32_f64_e32 v1, v[2:3]
	v_add_co_u32 v2, vcc_lo, 0x2000, v14
	v_add_co_ci_u32_e32 v3, vcc_lo, 0, v15, vcc_lo
	global_store_dwordx2 v[4:5], v[0:1], off
	global_load_dwordx2 v[6:7], v[2:3], off offset:448
	v_add_nc_u32_e32 v0, 0x2000, v110
	v_add_co_u32 v4, vcc_lo, v4, s3
	v_add_co_ci_u32_e32 v5, vcc_lo, s2, v5, vcc_lo
	ds_read2_b64 v[0:3], v0 offset0:56 offset1:128
	s_waitcnt vmcnt(0) lgkmcnt(0)
	v_mul_f32_e32 v8, v1, v7
	v_mul_f32_e32 v7, v0, v7
	v_fmac_f32_e32 v8, v0, v6
	v_fma_f32 v6, v6, v1, -v7
	v_cvt_f64_f32_e32 v[0:1], v8
	v_cvt_f64_f32_e32 v[6:7], v6
	v_mul_f64 v[0:1], v[0:1], s[0:1]
	v_mul_f64 v[6:7], v[6:7], s[0:1]
	v_cvt_f32_f64_e32 v0, v[0:1]
	v_cvt_f32_f64_e32 v1, v[6:7]
	v_lshlrev_b32_e32 v6, 3, v105
	global_store_dwordx2 v[4:5], v[0:1], off
	global_load_dwordx2 v[0:1], v6, s[12:13]
	s_waitcnt vmcnt(0)
	v_mul_f32_e32 v4, v3, v1
	v_mul_f32_e32 v1, v2, v1
	v_fmac_f32_e32 v4, v2, v0
	v_fma_f32 v2, v0, v3, -v1
	v_cvt_f64_f32_e32 v[0:1], v4
	v_cvt_f64_f32_e32 v[2:3], v2
	v_mad_u64_u32 v[4:5], null, s4, v105, 0
	v_mad_u64_u32 v[5:6], null, s5, v105, v[5:6]
	v_mul_f64 v[0:1], v[0:1], s[0:1]
	v_mul_f64 v[2:3], v[2:3], s[0:1]
	v_cvt_f32_f64_e32 v0, v[0:1]
	v_cvt_f32_f64_e32 v1, v[2:3]
	v_lshlrev_b64 v[2:3], 3, v[4:5]
	v_add_co_u32 v2, vcc_lo, v12, v2
	v_add_co_ci_u32_e32 v3, vcc_lo, v13, v3, vcc_lo
	global_store_dwordx2 v[2:3], v[0:1], off
.LBB0_15:
	s_endpgm
	.section	.rodata,"a",@progbits
	.p2align	6, 0x0
	.amdhsa_kernel bluestein_single_fwd_len1224_dim1_sp_op_CI_CI
		.amdhsa_group_segment_fixed_size 19584
		.amdhsa_private_segment_fixed_size 0
		.amdhsa_kernarg_size 104
		.amdhsa_user_sgpr_count 6
		.amdhsa_user_sgpr_private_segment_buffer 1
		.amdhsa_user_sgpr_dispatch_ptr 0
		.amdhsa_user_sgpr_queue_ptr 0
		.amdhsa_user_sgpr_kernarg_segment_ptr 1
		.amdhsa_user_sgpr_dispatch_id 0
		.amdhsa_user_sgpr_flat_scratch_init 0
		.amdhsa_user_sgpr_private_segment_size 0
		.amdhsa_wavefront_size32 1
		.amdhsa_uses_dynamic_stack 0
		.amdhsa_system_sgpr_private_segment_wavefront_offset 0
		.amdhsa_system_sgpr_workgroup_id_x 1
		.amdhsa_system_sgpr_workgroup_id_y 0
		.amdhsa_system_sgpr_workgroup_id_z 0
		.amdhsa_system_sgpr_workgroup_info 0
		.amdhsa_system_vgpr_workitem_id 0
		.amdhsa_next_free_vgpr 239
		.amdhsa_next_free_sgpr 16
		.amdhsa_reserve_vcc 1
		.amdhsa_reserve_flat_scratch 0
		.amdhsa_float_round_mode_32 0
		.amdhsa_float_round_mode_16_64 0
		.amdhsa_float_denorm_mode_32 3
		.amdhsa_float_denorm_mode_16_64 3
		.amdhsa_dx10_clamp 1
		.amdhsa_ieee_mode 1
		.amdhsa_fp16_overflow 0
		.amdhsa_workgroup_processor_mode 1
		.amdhsa_memory_ordered 1
		.amdhsa_forward_progress 0
		.amdhsa_shared_vgpr_count 0
		.amdhsa_exception_fp_ieee_invalid_op 0
		.amdhsa_exception_fp_denorm_src 0
		.amdhsa_exception_fp_ieee_div_zero 0
		.amdhsa_exception_fp_ieee_overflow 0
		.amdhsa_exception_fp_ieee_underflow 0
		.amdhsa_exception_fp_ieee_inexact 0
		.amdhsa_exception_int_div_zero 0
	.end_amdhsa_kernel
	.text
.Lfunc_end0:
	.size	bluestein_single_fwd_len1224_dim1_sp_op_CI_CI, .Lfunc_end0-bluestein_single_fwd_len1224_dim1_sp_op_CI_CI
                                        ; -- End function
	.section	.AMDGPU.csdata,"",@progbits
; Kernel info:
; codeLenInByte = 19460
; NumSgprs: 18
; NumVgprs: 239
; ScratchSize: 0
; MemoryBound: 0
; FloatMode: 240
; IeeeMode: 1
; LDSByteSize: 19584 bytes/workgroup (compile time only)
; SGPRBlocks: 2
; VGPRBlocks: 29
; NumSGPRsForWavesPerEU: 18
; NumVGPRsForWavesPerEU: 239
; Occupancy: 4
; WaveLimiterHint : 1
; COMPUTE_PGM_RSRC2:SCRATCH_EN: 0
; COMPUTE_PGM_RSRC2:USER_SGPR: 6
; COMPUTE_PGM_RSRC2:TRAP_HANDLER: 0
; COMPUTE_PGM_RSRC2:TGID_X_EN: 1
; COMPUTE_PGM_RSRC2:TGID_Y_EN: 0
; COMPUTE_PGM_RSRC2:TGID_Z_EN: 0
; COMPUTE_PGM_RSRC2:TIDIG_COMP_CNT: 0
	.text
	.p2alignl 6, 3214868480
	.fill 48, 4, 3214868480
	.type	__hip_cuid_d612b9a5f45de710,@object ; @__hip_cuid_d612b9a5f45de710
	.section	.bss,"aw",@nobits
	.globl	__hip_cuid_d612b9a5f45de710
__hip_cuid_d612b9a5f45de710:
	.byte	0                               ; 0x0
	.size	__hip_cuid_d612b9a5f45de710, 1

	.ident	"AMD clang version 19.0.0git (https://github.com/RadeonOpenCompute/llvm-project roc-6.4.0 25133 c7fe45cf4b819c5991fe208aaa96edf142730f1d)"
	.section	".note.GNU-stack","",@progbits
	.addrsig
	.addrsig_sym __hip_cuid_d612b9a5f45de710
	.amdgpu_metadata
---
amdhsa.kernels:
  - .args:
      - .actual_access:  read_only
        .address_space:  global
        .offset:         0
        .size:           8
        .value_kind:     global_buffer
      - .actual_access:  read_only
        .address_space:  global
        .offset:         8
        .size:           8
        .value_kind:     global_buffer
      - .actual_access:  read_only
        .address_space:  global
        .offset:         16
        .size:           8
        .value_kind:     global_buffer
      - .actual_access:  read_only
        .address_space:  global
        .offset:         24
        .size:           8
        .value_kind:     global_buffer
      - .actual_access:  read_only
        .address_space:  global
        .offset:         32
        .size:           8
        .value_kind:     global_buffer
      - .offset:         40
        .size:           8
        .value_kind:     by_value
      - .address_space:  global
        .offset:         48
        .size:           8
        .value_kind:     global_buffer
      - .address_space:  global
        .offset:         56
        .size:           8
        .value_kind:     global_buffer
      - .address_space:  global
        .offset:         64
        .size:           8
        .value_kind:     global_buffer
      - .address_space:  global
        .offset:         72
        .size:           8
        .value_kind:     global_buffer
      - .offset:         80
        .size:           4
        .value_kind:     by_value
      - .address_space:  global
        .offset:         88
        .size:           8
        .value_kind:     global_buffer
      - .address_space:  global
        .offset:         96
        .size:           8
        .value_kind:     global_buffer
    .group_segment_fixed_size: 19584
    .kernarg_segment_align: 8
    .kernarg_segment_size: 104
    .language:       OpenCL C
    .language_version:
      - 2
      - 0
    .max_flat_workgroup_size: 204
    .name:           bluestein_single_fwd_len1224_dim1_sp_op_CI_CI
    .private_segment_fixed_size: 0
    .sgpr_count:     18
    .sgpr_spill_count: 0
    .symbol:         bluestein_single_fwd_len1224_dim1_sp_op_CI_CI.kd
    .uniform_work_group_size: 1
    .uses_dynamic_stack: false
    .vgpr_count:     239
    .vgpr_spill_count: 0
    .wavefront_size: 32
    .workgroup_processor_mode: 1
amdhsa.target:   amdgcn-amd-amdhsa--gfx1030
amdhsa.version:
  - 1
  - 2
...

	.end_amdgpu_metadata
